;; amdgpu-corpus repo=ROCm/rocFFT kind=compiled arch=gfx1201 opt=O3
	.text
	.amdgcn_target "amdgcn-amd-amdhsa--gfx1201"
	.amdhsa_code_object_version 6
	.protected	fft_rtc_fwd_len3840_factors_10_6_2_2_2_2_2_2_wgs_128_tpt_128_halfLds_half_op_CI_CI_unitstride_sbrr_dirReg ; -- Begin function fft_rtc_fwd_len3840_factors_10_6_2_2_2_2_2_2_wgs_128_tpt_128_halfLds_half_op_CI_CI_unitstride_sbrr_dirReg
	.globl	fft_rtc_fwd_len3840_factors_10_6_2_2_2_2_2_2_wgs_128_tpt_128_halfLds_half_op_CI_CI_unitstride_sbrr_dirReg
	.p2align	8
	.type	fft_rtc_fwd_len3840_factors_10_6_2_2_2_2_2_2_wgs_128_tpt_128_halfLds_half_op_CI_CI_unitstride_sbrr_dirReg,@function
fft_rtc_fwd_len3840_factors_10_6_2_2_2_2_2_2_wgs_128_tpt_128_halfLds_half_op_CI_CI_unitstride_sbrr_dirReg: ; @fft_rtc_fwd_len3840_factors_10_6_2_2_2_2_2_2_wgs_128_tpt_128_halfLds_half_op_CI_CI_unitstride_sbrr_dirReg
; %bb.0:
	s_clause 0x2
	s_load_b128 s[8:11], s[0:1], 0x0
	s_load_b128 s[4:7], s[0:1], 0x58
	;; [unrolled: 1-line block ×3, first 2 shown]
	v_mov_b32_e32 v4, 0
	v_mov_b32_e32 v2, 0
	v_dual_mov_b32 v3, 0 :: v_dual_mov_b32 v6, ttmp9
	s_mov_b32 s3, 0
	s_delay_alu instid0(VALU_DEP_3) | instskip(SKIP_2) | instid1(VALU_DEP_1)
	v_mov_b32_e32 v7, v4
	s_wait_kmcnt 0x0
	v_cmp_lt_u64_e64 s2, s[10:11], 2
	s_and_b32 vcc_lo, exec_lo, s2
	s_cbranch_vccnz .LBB0_8
; %bb.1:
	s_load_b64 s[20:21], s[0:1], 0x10
	v_mov_b32_e32 v2, 0
	v_mov_b32_e32 v3, 0
	s_add_nc_u64 s[16:17], s[14:15], 8
	s_add_nc_u64 s[18:19], s[12:13], 8
	s_mov_b64 s[22:23], 1
	s_delay_alu instid0(VALU_DEP_1)
	v_dual_mov_b32 v23, v3 :: v_dual_mov_b32 v22, v2
	s_wait_kmcnt 0x0
	s_add_nc_u64 s[20:21], s[20:21], 8
.LBB0_2:                                ; =>This Inner Loop Header: Depth=1
	s_load_b64 s[24:25], s[20:21], 0x0
                                        ; implicit-def: $vgpr24_vgpr25
	s_mov_b32 s2, exec_lo
	s_wait_kmcnt 0x0
	v_or_b32_e32 v5, s25, v7
	s_delay_alu instid0(VALU_DEP_1)
	v_cmpx_ne_u64_e32 0, v[4:5]
	s_wait_alu 0xfffe
	s_xor_b32 s26, exec_lo, s2
	s_cbranch_execz .LBB0_4
; %bb.3:                                ;   in Loop: Header=BB0_2 Depth=1
	s_cvt_f32_u32 s2, s24
	s_cvt_f32_u32 s27, s25
	s_sub_nc_u64 s[30:31], 0, s[24:25]
	s_wait_alu 0xfffe
	s_delay_alu instid0(SALU_CYCLE_1) | instskip(SKIP_1) | instid1(SALU_CYCLE_2)
	s_fmamk_f32 s2, s27, 0x4f800000, s2
	s_wait_alu 0xfffe
	v_s_rcp_f32 s2, s2
	s_delay_alu instid0(TRANS32_DEP_1) | instskip(SKIP_1) | instid1(SALU_CYCLE_2)
	s_mul_f32 s2, s2, 0x5f7ffffc
	s_wait_alu 0xfffe
	s_mul_f32 s27, s2, 0x2f800000
	s_wait_alu 0xfffe
	s_delay_alu instid0(SALU_CYCLE_2) | instskip(SKIP_1) | instid1(SALU_CYCLE_2)
	s_trunc_f32 s27, s27
	s_wait_alu 0xfffe
	s_fmamk_f32 s2, s27, 0xcf800000, s2
	s_cvt_u32_f32 s29, s27
	s_wait_alu 0xfffe
	s_delay_alu instid0(SALU_CYCLE_1) | instskip(SKIP_1) | instid1(SALU_CYCLE_2)
	s_cvt_u32_f32 s28, s2
	s_wait_alu 0xfffe
	s_mul_u64 s[34:35], s[30:31], s[28:29]
	s_wait_alu 0xfffe
	s_mul_hi_u32 s37, s28, s35
	s_mul_i32 s36, s28, s35
	s_mul_hi_u32 s2, s28, s34
	s_mul_i32 s33, s29, s34
	s_wait_alu 0xfffe
	s_add_nc_u64 s[36:37], s[2:3], s[36:37]
	s_mul_hi_u32 s27, s29, s34
	s_mul_hi_u32 s38, s29, s35
	s_add_co_u32 s2, s36, s33
	s_wait_alu 0xfffe
	s_add_co_ci_u32 s2, s37, s27
	s_mul_i32 s34, s29, s35
	s_add_co_ci_u32 s35, s38, 0
	s_wait_alu 0xfffe
	s_add_nc_u64 s[34:35], s[2:3], s[34:35]
	s_wait_alu 0xfffe
	v_add_co_u32 v1, s2, s28, s34
	s_delay_alu instid0(VALU_DEP_1) | instskip(SKIP_1) | instid1(VALU_DEP_1)
	s_cmp_lg_u32 s2, 0
	s_add_co_ci_u32 s29, s29, s35
	v_readfirstlane_b32 s28, v1
	s_wait_alu 0xfffe
	s_delay_alu instid0(VALU_DEP_1)
	s_mul_u64 s[30:31], s[30:31], s[28:29]
	s_wait_alu 0xfffe
	s_mul_hi_u32 s35, s28, s31
	s_mul_i32 s34, s28, s31
	s_mul_hi_u32 s2, s28, s30
	s_mul_i32 s33, s29, s30
	s_wait_alu 0xfffe
	s_add_nc_u64 s[34:35], s[2:3], s[34:35]
	s_mul_hi_u32 s27, s29, s30
	s_mul_hi_u32 s28, s29, s31
	s_wait_alu 0xfffe
	s_add_co_u32 s2, s34, s33
	s_add_co_ci_u32 s2, s35, s27
	s_mul_i32 s30, s29, s31
	s_add_co_ci_u32 s31, s28, 0
	s_wait_alu 0xfffe
	s_add_nc_u64 s[30:31], s[2:3], s[30:31]
	s_wait_alu 0xfffe
	v_add_co_u32 v1, s2, v1, s30
	s_delay_alu instid0(VALU_DEP_1) | instskip(SKIP_1) | instid1(VALU_DEP_1)
	s_cmp_lg_u32 s2, 0
	s_add_co_ci_u32 s2, s29, s31
	v_mul_hi_u32 v5, v6, v1
	s_wait_alu 0xfffe
	v_mad_co_u64_u32 v[8:9], null, v6, s2, 0
	v_mad_co_u64_u32 v[10:11], null, v7, v1, 0
	;; [unrolled: 1-line block ×3, first 2 shown]
	s_delay_alu instid0(VALU_DEP_3) | instskip(SKIP_1) | instid1(VALU_DEP_4)
	v_add_co_u32 v1, vcc_lo, v5, v8
	s_wait_alu 0xfffd
	v_add_co_ci_u32_e32 v5, vcc_lo, 0, v9, vcc_lo
	s_delay_alu instid0(VALU_DEP_2) | instskip(SKIP_1) | instid1(VALU_DEP_2)
	v_add_co_u32 v1, vcc_lo, v1, v10
	s_wait_alu 0xfffd
	v_add_co_ci_u32_e32 v1, vcc_lo, v5, v11, vcc_lo
	s_wait_alu 0xfffd
	v_add_co_ci_u32_e32 v5, vcc_lo, 0, v13, vcc_lo
	s_delay_alu instid0(VALU_DEP_2) | instskip(SKIP_1) | instid1(VALU_DEP_2)
	v_add_co_u32 v1, vcc_lo, v1, v12
	s_wait_alu 0xfffd
	v_add_co_ci_u32_e32 v5, vcc_lo, 0, v5, vcc_lo
	s_delay_alu instid0(VALU_DEP_2) | instskip(SKIP_1) | instid1(VALU_DEP_3)
	v_mul_lo_u32 v10, s25, v1
	v_mad_co_u64_u32 v[8:9], null, s24, v1, 0
	v_mul_lo_u32 v11, s24, v5
	s_delay_alu instid0(VALU_DEP_2) | instskip(NEXT) | instid1(VALU_DEP_2)
	v_sub_co_u32 v8, vcc_lo, v6, v8
	v_add3_u32 v9, v9, v11, v10
	s_delay_alu instid0(VALU_DEP_1) | instskip(SKIP_1) | instid1(VALU_DEP_1)
	v_sub_nc_u32_e32 v10, v7, v9
	s_wait_alu 0xfffd
	v_subrev_co_ci_u32_e64 v10, s2, s25, v10, vcc_lo
	v_add_co_u32 v11, s2, v1, 2
	s_wait_alu 0xf1ff
	v_add_co_ci_u32_e64 v12, s2, 0, v5, s2
	v_sub_co_u32 v13, s2, v8, s24
	v_sub_co_ci_u32_e32 v9, vcc_lo, v7, v9, vcc_lo
	s_wait_alu 0xf1ff
	v_subrev_co_ci_u32_e64 v10, s2, 0, v10, s2
	s_delay_alu instid0(VALU_DEP_3) | instskip(NEXT) | instid1(VALU_DEP_3)
	v_cmp_le_u32_e32 vcc_lo, s24, v13
	v_cmp_eq_u32_e64 s2, s25, v9
	s_wait_alu 0xfffd
	v_cndmask_b32_e64 v13, 0, -1, vcc_lo
	v_cmp_le_u32_e32 vcc_lo, s25, v10
	s_wait_alu 0xfffd
	v_cndmask_b32_e64 v14, 0, -1, vcc_lo
	v_cmp_le_u32_e32 vcc_lo, s24, v8
	;; [unrolled: 3-line block ×3, first 2 shown]
	s_wait_alu 0xfffd
	v_cndmask_b32_e64 v15, 0, -1, vcc_lo
	v_cmp_eq_u32_e32 vcc_lo, s25, v10
	s_wait_alu 0xf1ff
	s_delay_alu instid0(VALU_DEP_2)
	v_cndmask_b32_e64 v8, v15, v8, s2
	s_wait_alu 0xfffd
	v_cndmask_b32_e32 v10, v14, v13, vcc_lo
	v_add_co_u32 v13, vcc_lo, v1, 1
	s_wait_alu 0xfffd
	v_add_co_ci_u32_e32 v14, vcc_lo, 0, v5, vcc_lo
	s_delay_alu instid0(VALU_DEP_3) | instskip(SKIP_1) | instid1(VALU_DEP_2)
	v_cmp_ne_u32_e32 vcc_lo, 0, v10
	s_wait_alu 0xfffd
	v_dual_cndmask_b32 v9, v14, v12 :: v_dual_cndmask_b32 v10, v13, v11
	v_cmp_ne_u32_e32 vcc_lo, 0, v8
	s_wait_alu 0xfffd
	s_delay_alu instid0(VALU_DEP_2) | instskip(NEXT) | instid1(VALU_DEP_3)
	v_cndmask_b32_e32 v25, v5, v9, vcc_lo
	v_cndmask_b32_e32 v24, v1, v10, vcc_lo
.LBB0_4:                                ;   in Loop: Header=BB0_2 Depth=1
	s_wait_alu 0xfffe
	s_and_not1_saveexec_b32 s2, s26
	s_cbranch_execz .LBB0_6
; %bb.5:                                ;   in Loop: Header=BB0_2 Depth=1
	v_cvt_f32_u32_e32 v1, s24
	s_sub_co_i32 s26, 0, s24
	v_mov_b32_e32 v25, v4
	s_delay_alu instid0(VALU_DEP_2) | instskip(NEXT) | instid1(TRANS32_DEP_1)
	v_rcp_iflag_f32_e32 v1, v1
	v_mul_f32_e32 v1, 0x4f7ffffe, v1
	s_delay_alu instid0(VALU_DEP_1) | instskip(SKIP_1) | instid1(VALU_DEP_1)
	v_cvt_u32_f32_e32 v1, v1
	s_wait_alu 0xfffe
	v_mul_lo_u32 v5, s26, v1
	s_delay_alu instid0(VALU_DEP_1) | instskip(NEXT) | instid1(VALU_DEP_1)
	v_mul_hi_u32 v5, v1, v5
	v_add_nc_u32_e32 v1, v1, v5
	s_delay_alu instid0(VALU_DEP_1) | instskip(NEXT) | instid1(VALU_DEP_1)
	v_mul_hi_u32 v1, v6, v1
	v_mul_lo_u32 v5, v1, s24
	v_add_nc_u32_e32 v8, 1, v1
	s_delay_alu instid0(VALU_DEP_2) | instskip(NEXT) | instid1(VALU_DEP_1)
	v_sub_nc_u32_e32 v5, v6, v5
	v_subrev_nc_u32_e32 v9, s24, v5
	v_cmp_le_u32_e32 vcc_lo, s24, v5
	s_wait_alu 0xfffd
	s_delay_alu instid0(VALU_DEP_2) | instskip(SKIP_1) | instid1(VALU_DEP_2)
	v_cndmask_b32_e32 v5, v5, v9, vcc_lo
	v_cndmask_b32_e32 v1, v1, v8, vcc_lo
	v_cmp_le_u32_e32 vcc_lo, s24, v5
	s_delay_alu instid0(VALU_DEP_2) | instskip(SKIP_1) | instid1(VALU_DEP_1)
	v_add_nc_u32_e32 v8, 1, v1
	s_wait_alu 0xfffd
	v_cndmask_b32_e32 v24, v1, v8, vcc_lo
.LBB0_6:                                ;   in Loop: Header=BB0_2 Depth=1
	s_wait_alu 0xfffe
	s_or_b32 exec_lo, exec_lo, s2
	v_mul_lo_u32 v1, v25, s24
	s_delay_alu instid0(VALU_DEP_2)
	v_mul_lo_u32 v5, v24, s25
	s_load_b64 s[26:27], s[18:19], 0x0
	v_mad_co_u64_u32 v[8:9], null, v24, s24, 0
	s_load_b64 s[24:25], s[16:17], 0x0
	s_add_nc_u64 s[22:23], s[22:23], 1
	s_add_nc_u64 s[16:17], s[16:17], 8
	s_wait_alu 0xfffe
	v_cmp_ge_u64_e64 s2, s[22:23], s[10:11]
	s_add_nc_u64 s[18:19], s[18:19], 8
	s_add_nc_u64 s[20:21], s[20:21], 8
	v_add3_u32 v1, v9, v5, v1
	v_sub_co_u32 v5, vcc_lo, v6, v8
	s_wait_alu 0xfffd
	s_delay_alu instid0(VALU_DEP_2) | instskip(SKIP_2) | instid1(VALU_DEP_1)
	v_sub_co_ci_u32_e32 v1, vcc_lo, v7, v1, vcc_lo
	s_and_b32 vcc_lo, exec_lo, s2
	s_wait_kmcnt 0x0
	v_mul_lo_u32 v6, s26, v1
	v_mul_lo_u32 v7, s27, v5
	v_mad_co_u64_u32 v[2:3], null, s26, v5, v[2:3]
	v_mul_lo_u32 v1, s24, v1
	v_mul_lo_u32 v8, s25, v5
	v_mad_co_u64_u32 v[22:23], null, s24, v5, v[22:23]
	s_delay_alu instid0(VALU_DEP_4) | instskip(NEXT) | instid1(VALU_DEP_2)
	v_add3_u32 v3, v7, v3, v6
	v_add3_u32 v23, v8, v23, v1
	s_wait_alu 0xfffe
	s_cbranch_vccnz .LBB0_9
; %bb.7:                                ;   in Loop: Header=BB0_2 Depth=1
	v_dual_mov_b32 v6, v24 :: v_dual_mov_b32 v7, v25
	s_branch .LBB0_2
.LBB0_8:
	v_dual_mov_b32 v23, v3 :: v_dual_mov_b32 v22, v2
	v_dual_mov_b32 v25, v7 :: v_dual_mov_b32 v24, v6
.LBB0_9:
	s_load_b64 s[0:1], s[0:1], 0x28
	v_or_b32_e32 v26, 0x80, v0
	v_or_b32_e32 v28, 0x100, v0
	;; [unrolled: 1-line block ×14, first 2 shown]
	s_lshl_b64 s[10:11], s[10:11], 3
	s_wait_kmcnt 0x0
	v_cmp_gt_u64_e32 vcc_lo, s[0:1], v[24:25]
	v_cmp_le_u64_e64 s0, s[0:1], v[24:25]
	s_delay_alu instid0(VALU_DEP_1)
	s_and_saveexec_b32 s1, s0
	s_wait_alu 0xfffe
	s_xor_b32 s0, exec_lo, s1
	s_cbranch_execz .LBB0_11
; %bb.10:
	v_mov_b32_e32 v1, 0
	v_or_b32_e32 v26, 0x80, v0
	v_or_b32_e32 v28, 0x100, v0
	;; [unrolled: 1-line block ×14, first 2 shown]
	v_dual_mov_b32 v27, v1 :: v_dual_mov_b32 v48, v1
	v_dual_mov_b32 v29, v1 :: v_dual_mov_b32 v46, v1
	v_mov_b32_e32 v42, v1
	v_mov_b32_e32 v44, v1
                                        ; implicit-def: $vgpr2_vgpr3
.LBB0_11:
	s_wait_alu 0xfffe
	s_or_saveexec_b32 s1, s0
	s_add_nc_u64 s[2:3], s[14:15], s[10:11]
                                        ; implicit-def: $vgpr49
                                        ; implicit-def: $vgpr19
                                        ; implicit-def: $vgpr63
                                        ; implicit-def: $vgpr62
                                        ; implicit-def: $vgpr64
                                        ; implicit-def: $vgpr60
                                        ; implicit-def: $vgpr69
                                        ; implicit-def: $vgpr61
                                        ; implicit-def: $vgpr70
                                        ; implicit-def: $vgpr71
                                        ; implicit-def: $vgpr4
                                        ; implicit-def: $vgpr37
                                        ; implicit-def: $vgpr18
                                        ; implicit-def: $vgpr11
                                        ; implicit-def: $vgpr21
                                        ; implicit-def: $vgpr10
                                        ; implicit-def: $vgpr20
                                        ; implicit-def: $vgpr12
                                        ; implicit-def: $vgpr56
                                        ; implicit-def: $vgpr14
                                        ; implicit-def: $vgpr5
                                        ; implicit-def: $vgpr35
                                        ; implicit-def: $vgpr13
                                        ; implicit-def: $vgpr6
                                        ; implicit-def: $vgpr16
                                        ; implicit-def: $vgpr8
                                        ; implicit-def: $vgpr15
                                        ; implicit-def: $vgpr9
                                        ; implicit-def: $vgpr17
                                        ; implicit-def: $vgpr7
                                        ; implicit-def: $vgpr52
                                        ; implicit-def: $vgpr55
                                        ; implicit-def: $vgpr53
                                        ; implicit-def: $vgpr54
                                        ; implicit-def: $vgpr51
                                        ; implicit-def: $vgpr68
                                        ; implicit-def: $vgpr66
                                        ; implicit-def: $vgpr65
                                        ; implicit-def: $vgpr67
                                        ; implicit-def: $vgpr39
                                        ; implicit-def: $vgpr59
                                        ; implicit-def: $vgpr50
                                        ; implicit-def: $vgpr57
                                        ; implicit-def: $vgpr58
                                        ; implicit-def: $vgpr72
	s_wait_alu 0xfffe
	s_xor_b32 exec_lo, exec_lo, s1
	s_cbranch_execz .LBB0_13
; %bb.12:
	s_add_nc_u64 s[10:11], s[12:13], s[10:11]
	s_load_b64 s[10:11], s[10:11], 0x0
	s_wait_kmcnt 0x0
	v_mul_lo_u32 v1, s11, v24
	v_mul_lo_u32 v6, s10, v25
	v_mad_co_u64_u32 v[4:5], null, s10, v24, 0
	s_delay_alu instid0(VALU_DEP_1) | instskip(SKIP_3) | instid1(VALU_DEP_4)
	v_add3_u32 v5, v5, v6, v1
	v_lshlrev_b64_e32 v[1:2], 2, v[2:3]
	v_lshlrev_b32_e32 v3, 2, v0
	v_lshlrev_b32_e32 v6, 2, v30
	v_lshlrev_b64_e32 v[4:5], 2, v[4:5]
	s_delay_alu instid0(VALU_DEP_3) | instskip(SKIP_1) | instid1(VALU_DEP_3)
	v_or_b32_e32 v7, 0x1e00, v3
	v_or_b32_e32 v10, 0x2e00, v3
	v_add_co_u32 v4, s0, s4, v4
	s_wait_alu 0xf1ff
	s_delay_alu instid0(VALU_DEP_4) | instskip(NEXT) | instid1(VALU_DEP_2)
	v_add_co_ci_u32_e64 v5, s0, s5, v5, s0
	v_add_co_u32 v8, s0, v4, v1
	s_wait_alu 0xf1ff
	s_delay_alu instid0(VALU_DEP_2) | instskip(NEXT) | instid1(VALU_DEP_2)
	v_add_co_ci_u32_e64 v9, s0, v5, v2, s0
	v_add_co_u32 v1, s0, v8, v3
	s_wait_alu 0xf1ff
	s_delay_alu instid0(VALU_DEP_2)
	v_add_co_ci_u32_e64 v2, s0, 0, v9, s0
	v_add_co_u32 v3, s0, v8, v7
	s_wait_alu 0xf1ff
	v_add_co_ci_u32_e64 v4, s0, 0, v9, s0
	v_add_co_u32 v5, s0, v8, v6
	s_wait_alu 0xf1ff
	;; [unrolled: 3-line block ×3, first 2 shown]
	v_add_co_ci_u32_e64 v16, s0, 0, v9, s0
	s_clause 0x1d
	global_load_b32 v62, v[1:2], off offset:3072
	global_load_b32 v19, v[1:2], off
	global_load_b32 v37, v[1:2], off offset:512
	global_load_b32 v11, v[5:6], off
	global_load_b32 v60, v[1:2], off offset:6144
	global_load_b32 v10, v[1:2], off offset:6656
	global_load_b32 v61, v[1:2], off offset:9216
	global_load_b32 v12, v[1:2], off offset:9728
	global_load_b32 v39, v[1:2], off offset:2048
	global_load_b32 v50, v[1:2], off offset:4608
	global_load_b32 v66, v[1:2], off offset:5120
	global_load_b32 v14, v[1:2], off offset:12800
	global_load_b32 v7, v[1:2], off offset:13312
	global_load_b32 v71, v[1:2], off offset:12288
	global_load_b32 v65, v[1:2], off offset:11264
	global_load_b32 v6, v[1:2], off offset:4096
	global_load_b32 v51, v[1:2], off offset:2560
	global_load_b32 v72, v[1:2], off offset:1536
	global_load_b32 v35, v[1:2], off offset:1024
	global_load_b32 v52, v[1:2], off offset:8704
	global_load_b32 v68, v[1:2], off offset:8192
	global_load_b32 v8, v[1:2], off offset:7168
	global_load_b32 v57, v[1:2], off offset:10752
	global_load_b32 v9, v[1:2], off offset:10240
	global_load_b32 v58, v[1:2], off offset:13824
	global_load_b32 v67, v[1:2], off offset:14336
	global_load_b32 v55, v[1:2], off offset:5632
	global_load_b32 v53, v[15:16], off
	global_load_b32 v59, v[3:4], off
	global_load_b32 v54, v[1:2], off offset:14848
	v_mov_b32_e32 v1, 0
	s_delay_alu instid0(VALU_DEP_1)
	v_mov_b32_e32 v48, v1
	v_dual_mov_b32 v44, v1 :: v_dual_mov_b32 v27, v1
	v_dual_mov_b32 v46, v1 :: v_dual_mov_b32 v29, v1
	v_mov_b32_e32 v42, v1
	s_wait_loadcnt 0x1d
	v_lshrrev_b32_e32 v63, 16, v62
	s_wait_loadcnt 0x1c
	v_lshrrev_b32_e32 v49, 16, v19
	;; [unrolled: 2-line block ×15, first 2 shown]
.LBB0_13:
	s_or_b32 exec_lo, exec_lo, s1
	v_add_f16_e32 v2, v60, v61
	v_sub_f16_e32 v73, v63, v70
	v_add_f16_e32 v76, v62, v71
	v_add_f16_e32 v3, v19, v62
	v_sub_f16_e32 v74, v64, v69
	v_fma_f16 v81, -0.5, v2, v19
	v_sub_f16_e32 v75, v62, v60
	v_sub_f16_e32 v2, v71, v61
	v_fmac_f16_e32 v19, -0.5, v76
	v_add_f16_e32 v3, v3, v60
	v_fmamk_f16 v82, v73, 0x3b9c, v81
	v_fmac_f16_e32 v81, 0xbb9c, v73
	v_add_f16_e32 v75, v75, v2
	v_fmamk_f16 v2, v74, 0xbb9c, v19
	v_fmac_f16_e32 v19, 0x3b9c, v74
	v_fmac_f16_e32 v82, 0x38b4, v74
	v_fmac_f16_e32 v81, 0xb8b4, v74
	v_add_f16_e32 v74, v49, v63
	v_add_f16_e32 v78, v64, v69
	v_sub_f16_e32 v77, v60, v62
	v_add_f16_e32 v3, v3, v61
	v_fmac_f16_e32 v2, 0x38b4, v73
	v_fmac_f16_e32 v19, 0xb8b4, v73
	v_add_f16_e32 v73, v74, v64
	v_fma_f16 v91, -0.5, v78, v49
	v_sub_f16_e32 v62, v62, v71
	v_sub_f16_e32 v76, v61, v71
	v_add_f16_e32 v3, v3, v71
	v_add_f16_e32 v71, v73, v69
	;; [unrolled: 1-line block ×3, first 2 shown]
	v_fmamk_f16 v78, v62, 0xbb9c, v91
	v_sub_f16_e32 v60, v60, v61
	v_sub_f16_e32 v61, v63, v64
	;; [unrolled: 1-line block ×3, first 2 shown]
	v_fmac_f16_e32 v91, 0x3b9c, v62
	v_fmac_f16_e32 v49, -0.5, v73
	v_fmac_f16_e32 v78, 0xb8b4, v60
	v_sub_f16_e32 v63, v64, v63
	v_add_f16_e32 v61, v61, v74
	v_fmac_f16_e32 v91, 0x38b4, v60
	v_sub_f16_e32 v64, v69, v70
	v_fmac_f16_e32 v82, 0x34f2, v75
	v_fmac_f16_e32 v81, 0x34f2, v75
	v_fmamk_f16 v74, v60, 0x3b9c, v49
	v_fmac_f16_e32 v78, 0x34f2, v61
	v_fmac_f16_e32 v91, 0x34f2, v61
	;; [unrolled: 1-line block ×3, first 2 shown]
	v_add_f16_e32 v75, v63, v64
	s_wait_loadcnt 0x1
	v_pk_add_f16 v60, v50, v59 neg_lo:[0,1] neg_hi:[0,1]
	v_pk_add_f16 v61, v58, v57 neg_lo:[0,1] neg_hi:[0,1]
	v_add_f16_e32 v63, v59, v57
	v_add_f16_e32 v76, v77, v76
	v_pk_add_f16 v73, v59, v57 neg_lo:[0,1] neg_hi:[0,1]
	v_lshrrev_b32_e32 v64, 16, v57
	v_pk_add_f16 v60, v60, v61
	v_fma_f16 v61, -0.5, v63, v72
	v_lshrrev_b32_e32 v63, 16, v59
	v_fmac_f16_e32 v2, 0x34f2, v76
	v_fmac_f16_e32 v19, 0x34f2, v76
	v_add_f16_e32 v71, v71, v70
	v_pk_add_f16 v77, v50, v58 neg_lo:[0,1] neg_hi:[0,1]
	v_bfi_b32 v60, 0xffff, v60, v73
	v_lshrrev_b32_e32 v69, 16, v50
	v_lshrrev_b32_e32 v70, 16, v72
	v_add_f16_e32 v76, v63, v64
	v_lshrrev_b32_e32 v79, 16, v77
	v_pk_mul_f16 v60, 0x38b434f2, v60
	v_lshrrev_b32_e32 v84, 16, v58
	v_add_f16_e32 v80, v70, v69
	v_fmac_f16_e32 v70, -0.5, v76
	v_fmac_f16_e32 v74, 0xb8b4, v62
	v_fmac_f16_e32 v49, 0x38b4, v62
	v_add_f16_e32 v62, v72, v50
	v_fmamk_f16 v76, v79, 0x3b9c, v61
	v_lshrrev_b32_e32 v83, 16, v60
	v_fmac_f16_e32 v61, 0xbb9c, v79
	v_fmamk_f16 v86, v77, 0xbb9c, v70
	v_sub_f16_e32 v69, v69, v63
	v_sub_f16_e32 v79, v84, v64
	v_fmac_f16_e32 v70, 0x3b9c, v77
	v_add_f16_e32 v62, v62, v59
	v_add_f16_e32 v76, v83, v76
	v_sub_f16_e32 v61, v61, v83
	v_fmac_f16_e32 v86, 0xb8b4, v73
	v_add_f16_e32 v69, v69, v79
	v_fmac_f16_e32 v70, 0x38b4, v73
	v_add_f16_e32 v62, v62, v57
	v_add_f16_e32 v76, v60, v76
	;; [unrolled: 1-line block ×3, first 2 shown]
	v_fmac_f16_e32 v86, 0x34f2, v69
	v_add_f16_e32 v61, v80, v63
	v_fmac_f16_e32 v70, 0x34f2, v69
	v_add_f16_e32 v62, v62, v58
	v_pk_add_f16 v79, v50, v58
	v_pk_add_f16 v83, v59, v50 neg_lo:[0,1] neg_hi:[0,1]
	v_mul_f16_e32 v50, 0x38b4, v86
	v_add_f16_e32 v59, v61, v64
	v_mul_f16_e32 v61, 0x3a79, v60
	v_pk_add_f16 v87, v57, v58 neg_lo:[0,1] neg_hi:[0,1]
	v_mul_f16_e32 v58, 0x3a79, v70
	v_fmac_f16_e32 v50, 0x3a79, v76
	v_add_f16_e32 v57, v59, v84
	v_fma_f16 v59, v70, 0x38b4, -v61
	v_mul_f16_e32 v80, 0xb8b4, v76
	v_fma_f16 v58, v60, 0xb8b4, -v58
	v_add_f16_e32 v60, v10, v12
	v_add_f16_e32 v85, v82, v50
	;; [unrolled: 1-line block ×4, first 2 shown]
	v_sub_f16_e32 v92, v82, v50
	v_fma_f16 v93, -0.5, v60, v37
	v_sub_f16_e32 v50, v81, v59
	v_sub_f16_e32 v88, v71, v57
	v_add_f16_e32 v57, v11, v14
	v_pk_add_f16 v59, v66, v68 neg_lo:[0,1] neg_hi:[0,1]
	v_pk_add_f16 v60, v67, v65 neg_lo:[0,1] neg_hi:[0,1]
	v_fmac_f16_e32 v80, 0x3a79, v86
	v_add_f16_e32 v86, v91, v58
	v_sub_f16_e32 v81, v91, v58
	v_add_f16_e32 v63, v37, v11
	v_fmac_f16_e32 v37, -0.5, v57
	v_pk_add_f16 v57, v59, v60
	v_pk_add_f16 v91, v68, v65 neg_lo:[0,1] neg_hi:[0,1]
	v_add_f16_e32 v84, v3, v62
	v_sub_f16_e32 v90, v3, v62
	v_sub_f16_e32 v3, v18, v56
	;; [unrolled: 1-line block ×5, first 2 shown]
	v_add_f16_e32 v64, v68, v65
	v_pk_add_f16 v94, v66, v67 neg_lo:[0,1] neg_hi:[0,1]
	v_bfi_b32 v57, 0xffff, v57, v91
	v_fmamk_f16 v71, v3, 0x3b9c, v93
	v_fmac_f16_e32 v93, 0xbb9c, v3
	v_add_f16_e32 v61, v61, v62
	v_fma_f16 v62, -0.5, v64, v39
	v_lshrrev_b32_e32 v69, 16, v94
	v_pk_mul_f16 v70, 0x38b434f2, v57
	v_fmamk_f16 v64, v58, 0xbb9c, v37
	v_fmac_f16_e32 v37, 0x3b9c, v58
	v_fmac_f16_e32 v71, 0x38b4, v58
	;; [unrolled: 1-line block ×3, first 2 shown]
	v_fmamk_f16 v57, v69, 0x3b9c, v62
	v_lshrrev_b32_e32 v82, 16, v70
	v_fmac_f16_e32 v64, 0x38b4, v3
	v_fmac_f16_e32 v62, 0xbb9c, v69
	;; [unrolled: 1-line block ×3, first 2 shown]
	v_lshrrev_b32_e32 v58, 16, v68
	v_lshrrev_b32_e32 v3, 16, v65
	v_sub_f16_e32 v59, v10, v11
	v_sub_f16_e32 v60, v12, v14
	v_add_f16_e32 v69, v82, v57
	v_sub_f16_e32 v82, v62, v82
	v_lshrrev_b32_e32 v62, 16, v66
	v_lshrrev_b32_e32 v57, 16, v39
	v_add_f16_e32 v96, v58, v3
	v_add_f16_e32 v95, v59, v60
	v_fmac_f16_e32 v71, 0x34f2, v61
	v_fmac_f16_e32 v93, 0x34f2, v61
	v_add_f16_e32 v61, v39, v66
	v_add_f16_e32 v60, v57, v62
	v_lshrrev_b32_e32 v59, 16, v67
	v_fmac_f16_e32 v57, -0.5, v96
	v_sub_f16_e32 v97, v62, v58
	v_add_f16_e32 v96, v61, v68
	v_fmac_f16_e32 v64, 0x34f2, v95
	v_sub_f16_e32 v98, v59, v3
	v_fmamk_f16 v61, v94, 0xbb9c, v57
	v_fmac_f16_e32 v37, 0x34f2, v95
	v_fmac_f16_e32 v57, 0x3b9c, v94
	v_add_f16_e32 v62, v70, v69
	v_add_f16_e32 v95, v97, v98
	v_fmac_f16_e32 v61, 0xb8b4, v91
	v_add_f16_e32 v69, v96, v65
	v_add_f16_e32 v96, v63, v10
	v_add_f16_e32 v63, v70, v82
	v_fmac_f16_e32 v57, 0x38b4, v91
	v_fmac_f16_e32 v61, 0x34f2, v95
	v_add_f16_e32 v70, v69, v67
	v_add_f16_e32 v69, v96, v12
	v_pk_add_f16 v96, v68, v66 neg_lo:[0,1] neg_hi:[0,1]
	v_fmac_f16_e32 v57, 0x34f2, v95
	v_mul_f16_e32 v82, 0x38b4, v61
	v_mul_f16_e32 v95, 0x3a79, v63
	v_pk_add_f16 v97, v66, v67
	v_add_f16_e32 v66, v69, v14
	v_pk_fma_f16 v72, v79, 0.5, v72 op_sel_hi:[1,0,1] neg_lo:[1,0,0] neg_hi:[1,0,0]
	v_fmac_f16_e32 v82, 0x3a79, v62
	v_fma_f16 v95, v57, 0x38b4, -v95
	v_pk_mul_f16 v73, 0x3b9c, v73 op_sel_hi:[0,1]
	v_pk_add_f16 v98, v65, v67 neg_lo:[0,1] neg_hi:[0,1]
	v_add_f16_e32 v69, v66, v70
	v_sub_f16_e32 v67, v66, v70
	v_add_f16_e32 v70, v71, v82
	v_sub_f16_e32 v71, v71, v82
	;; [unrolled: 2-line block ×3, first 2 shown]
	v_pk_add_f16 v93, v72, v73 op_sel:[0,1] op_sel_hi:[1,0] neg_lo:[0,1] neg_hi:[0,1]
	v_pk_mul_f16 v95, 0x38b4, v77 op_sel_hi:[0,1]
	v_pk_add_f16 v83, v83, v87
	v_pk_add_f16 v72, v73, v72 op_sel:[1,0] op_sel_hi:[0,1]
	v_sub_f16_e32 v87, v8, v6
	v_pack_b32_f16 v49, v49, v74
	v_pk_add_f16 v73, v95, v93 op_sel:[1,0] op_sel_hi:[0,1]
	v_sub_f16_e32 v93, v9, v7
	v_pk_add_f16 v72, v72, v95 op_sel:[0,1] op_sel_hi:[1,0] neg_lo:[0,1] neg_hi:[0,1]
	v_mul_f16_e32 v75, 0x34f2, v75
	v_pack_b32_f16 v84, v84, v85
	v_pk_fma_f16 v73, 0x34f2, v83, v73 op_sel_hi:[0,1,1]
	v_add_f16_e32 v87, v87, v93
	v_pk_fma_f16 v74, 0x34f2, v83, v72 op_sel_hi:[0,1,1]
	v_pk_add_f16 v93, v75, v49 op_sel_hi:[0,1]
	v_mul_u32_u24_e32 v49, 10, v0
	v_pk_mul_f16 v72, 0x34f23b9c, v73
	v_pack_b32_f16 v85, v89, v90
	v_add_f16_e32 v75, v78, v80
	v_pk_fma_f16 v90, v97, 0.5, v39 op_sel_hi:[1,0,1] neg_lo:[1,0,0] neg_hi:[1,0,0]
	v_pk_mul_f16 v91, 0x3b9c, v91 op_sel_hi:[0,1]
	v_pk_fma_f16 v95, 0x34f2bb9c, v74, v72 op_sel:[0,0,1] op_sel_hi:[1,1,0] neg_lo:[0,0,1] neg_hi:[0,0,1]
	v_lshl_add_u32 v72, v49, 1, 0
	v_pack_b32_f16 v75, v76, v75
	v_and_b32_e32 v39, 0xff, v0
	v_add_f16_e32 v65, v8, v9
	v_pk_add_f16 v89, v93, v95
	ds_store_b32 v72, v84
	ds_store_b32 v72, v85 offset:8
	ds_store_b16 v72, v92 offset:12
	ds_store_b16 v72, v50 offset:18
	v_alignbit_b32 v76, v89, v89, 16
	v_pk_add_f16 v84, v91, v90 op_sel:[1,0] op_sel_hi:[0,1]
	v_pk_mul_f16 v89, 0x38b4, v94 op_sel_hi:[0,1]
	v_pk_add_f16 v90, v90, v91 op_sel:[0,1] op_sel_hi:[1,0] neg_lo:[0,1] neg_hi:[0,1]
	v_pk_add_f16 v85, v96, v98
	v_bfi_b32 v94, 0xffff, v80, v95
	v_fma_f16 v65, -0.5, v65, v35
	v_pk_add_f16 v91, v84, v89 op_sel:[0,1] op_sel_hi:[1,0] neg_lo:[0,1] neg_hi:[0,1]
	v_mul_lo_u16 v84, 0xcd, v39
	v_pk_add_f16 v89, v89, v90 op_sel:[1,0] op_sel_hi:[0,1]
	v_bfi_b32 v90, 0xffff, v78, v93
	v_sub_f16_e32 v68, v13, v17
	v_pk_fma_f16 v78, 0x34f2, v85, v91 op_sel_hi:[0,1,1]
	v_lshrrev_b16 v84, 11, v84
	v_pk_fma_f16 v80, 0x34f2, v85, v89 op_sel_hi:[0,1,1]
	v_pk_add_f16 v85, v90, v94 neg_lo:[0,1] neg_hi:[0,1]
	v_sub_f16_e32 v99, v6, v8
	v_mul_f16_e32 v89, 0x34f2, v78
	v_mul_lo_u16 v91, v84, 10
	v_lshrrev_b32_e32 v90, 16, v80
	v_sub_f16_e32 v100, v7, v9
	v_fmamk_f16 v66, v68, 0x3b9c, v65
	v_sub_f16_e32 v101, v16, v15
	v_sub_nc_u16 v91, v0, v91
	v_fmac_f16_e32 v65, 0xbb9c, v68
	v_pack_b32_f16 v86, v86, v88
	v_mul_f16_e32 v88, 0x34f2, v80
	v_lshrrev_b32_e32 v94, 16, v78
	v_and_b32_e32 v108, 0xff, v91
	v_fma_f16 v89, v90, 0x3b9c, -v89
	v_pk_add_f16 v90, v55, v52 neg_lo:[0,1] neg_hi:[0,1]
	s_wait_loadcnt 0x0
	v_pk_add_f16 v91, v54, v53 neg_lo:[0,1] neg_hi:[0,1]
	v_add_f16_e32 v99, v99, v100
	v_fmac_f16_e32 v66, 0x38b4, v101
	v_fmac_f16_e32 v65, 0xb8b4, v101
	v_sub_f16_e32 v93, v93, v95
	v_fmac_f16_e32 v88, 0x3b9c, v94
	v_and_b32_e32 v84, 0xffff, v84
	v_pk_add_f16 v90, v90, v91
	v_pk_add_f16 v91, v52, v53 neg_lo:[0,1] neg_hi:[0,1]
	v_fmac_f16_e32 v66, 0x34f2, v99
	v_fmac_f16_e32 v65, 0x34f2, v99
	v_add_f16_e32 v99, v6, v7
	v_pack_b32_f16 v81, v93, v81
	v_mul_u32_u24_e32 v84, 0x78, v84
	v_lshlrev_b32_e32 v92, 1, v108
	v_add_f16_e32 v93, v64, v88
	v_add_f16_e32 v94, v37, v89
	v_sub_f16_e32 v50, v64, v88
	v_add_f16_e32 v64, v52, v53
	v_pk_add_f16 v88, v55, v54 neg_lo:[0,1] neg_hi:[0,1]
	v_bfi_b32 v90, 0xffff, v90, v91
	v_add_f16_e32 v77, v35, v6
	v_fmac_f16_e32 v35, -0.5, v99
	v_add3_u32 v84, 0, v84, v92
	v_pack_b32_f16 v92, v93, v94
	v_mul_i32_i24_e32 v93, 10, v26
	v_fma_f16 v64, -0.5, v64, v51
	v_lshrrev_b32_e32 v94, 16, v88
	v_pk_mul_f16 v90, 0x38b434f2, v90
	v_fmamk_f16 v83, v101, 0xbb9c, v35
	v_fmac_f16_e32 v35, 0x3b9c, v101
	v_pack_b32_f16 v69, v69, v70
	v_pack_b32_f16 v70, v71, v50
	v_lshl_add_u32 v50, v93, 1, 0
	v_fmamk_f16 v71, v94, 0x3b9c, v64
	v_lshrrev_b32_e32 v93, 16, v90
	v_fmac_f16_e32 v64, 0xbb9c, v94
	v_fmac_f16_e32 v83, 0x38b4, v68
	;; [unrolled: 1-line block ×3, first 2 shown]
	v_lshrrev_b32_e32 v109, 16, v52
	v_add_f16_e32 v68, v93, v71
	v_add_f16_e32 v71, v51, v55
	v_sub_f16_e32 v64, v64, v93
	v_lshrrev_b32_e32 v110, 16, v53
	v_pack_b32_f16 v67, v82, v67
	v_add_f16_e32 v111, v90, v68
	v_add_f16_e32 v68, v71, v52
	v_lshrrev_b32_e32 v71, 16, v55
	v_lshrrev_b32_e32 v112, 16, v51
	v_add_f16_e32 v82, v109, v110
	v_add_f16_e32 v113, v90, v64
	;; [unrolled: 1-line block ×3, first 2 shown]
	v_lshrrev_b32_e32 v115, 16, v54
	v_pk_add_f16 v68, v55, v54
	v_add_f16_e32 v114, v112, v71
	v_fmac_f16_e32 v112, -0.5, v82
	v_pk_add_f16 v52, v52, v55 neg_lo:[0,1] neg_hi:[0,1]
	v_sub_f16_e32 v55, v71, v109
	v_sub_f16_e32 v71, v115, v110
	v_pk_fma_f16 v51, v68, 0.5, v51 op_sel_hi:[1,0,1] neg_lo:[1,0,0] neg_hi:[1,0,0]
	v_pk_mul_f16 v68, 0x3b9c, v91 op_sel_hi:[0,1]
	v_add_f16_e32 v64, v64, v54
	v_fmamk_f16 v116, v88, 0xbb9c, v112
	v_pk_add_f16 v53, v53, v54 neg_lo:[0,1] neg_hi:[0,1]
	v_add_f16_e32 v54, v55, v71
	v_pk_add_f16 v55, v51, v68 op_sel:[0,1] op_sel_hi:[1,0] neg_lo:[0,1] neg_hi:[0,1]
	v_pk_mul_f16 v71, 0x38b4, v88 op_sel_hi:[0,1]
	v_pk_add_f16 v51, v68, v51 op_sel:[1,0] op_sel_hi:[0,1]
	v_fmac_f16_e32 v116, 0xb8b4, v91
	v_add_f16_e32 v68, v77, v8
	v_pk_add_f16 v52, v52, v53
	v_pk_add_f16 v53, v71, v55 op_sel:[1,0] op_sel_hi:[0,1]
	v_pk_add_f16 v51, v51, v71 op_sel:[0,1] op_sel_hi:[1,0] neg_lo:[0,1] neg_hi:[0,1]
	v_fmac_f16_e32 v112, 0x3b9c, v88
	v_fmac_f16_e32 v116, 0x34f2, v54
	v_add_f16_e32 v55, v68, v9
	v_pk_fma_f16 v71, 0x34f2, v52, v53 op_sel_hi:[0,1,1]
	v_pk_fma_f16 v117, 0x34f2, v52, v51 op_sel_hi:[0,1,1]
	v_fmac_f16_e32 v112, 0x38b4, v91
	v_mul_f16_e32 v68, 0x38b4, v116
	v_add_f16_e32 v51, v55, v7
	v_mul_f16_e32 v52, 0x34f2, v71
	v_lshrrev_b32_e32 v53, 16, v117
	v_mul_f16_e32 v55, 0x34f2, v117
	v_lshrrev_b32_e32 v77, 16, v71
	v_sub_f16_e32 v37, v37, v89
	v_fmac_f16_e32 v83, 0x34f2, v87
	v_fmac_f16_e32 v35, 0x34f2, v87
	;; [unrolled: 1-line block ×4, first 2 shown]
	v_mul_f16_e32 v54, 0x3a79, v113
	v_fmac_f16_e32 v52, 0x3b9c, v53
	v_fma_f16 v53, v77, 0x3b9c, -v55
	v_pack_b32_f16 v37, v37, v79
	v_add_f16_e32 v79, v51, v64
	v_sub_f16_e32 v64, v51, v64
	v_fma_f16 v51, v112, 0x38b4, -v54
	v_add_f16_e32 v54, v66, v68
	v_sub_f16_e32 v55, v66, v68
	v_add_f16_e32 v68, v83, v52
	v_add_f16_e32 v77, v35, v53
	;; [unrolled: 1-line block ×3, first 2 shown]
	v_sub_f16_e32 v65, v65, v51
	v_sub_f16_e32 v51, v83, v52
	;; [unrolled: 1-line block ×3, first 2 shown]
	ds_store_2addr_b32 v50, v69, v92 offset1:1
	ds_store_2addr_b32 v50, v67, v70 offset0:2 offset1:3
	ds_store_b32 v50, v37 offset:16
	v_pack_b32_f16 v67, v68, v77
	v_pack_b32_f16 v68, v79, v54
	v_mul_f16_e32 v54, 0x34f2, v73
	v_lshrrev_b32_e32 v37, 16, v74
	v_mul_f16_e32 v53, 0x34f2, v74
	v_lshrrev_b32_e32 v69, 16, v73
	v_pack_b32_f16 v70, v55, v51
	v_mul_i32_i24_e32 v52, 10, v28
	v_fmac_f16_e32 v54, 0x3b9c, v37
	v_pack_b32_f16 v64, v66, v64
	v_fma_f16 v55, v69, 0x3b9c, -v53
	v_pack_b32_f16 v65, v35, v65
	v_lshl_add_u32 v51, v52, 1, 0
	v_add_f16_e32 v66, v2, v54
	v_sub_f16_e32 v2, v2, v54
	v_add_f16_e32 v69, v19, v55
	v_sub_f16_e32 v19, v19, v55
	s_load_b64 s[2:3], s[2:3], 0x0
	v_sub_f16_e32 v11, v11, v14
	v_sub_f16_e32 v10, v10, v12
	v_pack_b32_f16 v66, v66, v69
	ds_store_2addr_b32 v51, v68, v67 offset1:1
	ds_store_2addr_b32 v51, v64, v70 offset0:2 offset1:3
	ds_store_b32 v51, v65 offset:16
	ds_store_b32 v72, v66 offset:4
	ds_store_b16 v72, v2 offset:14
	ds_store_b16 v72, v19 offset:16
	v_add_f16_e32 v2, v4, v18
	v_add_f16_e32 v19, v21, v20
	v_add_f16_e32 v70, v18, v56
	v_sub_f16_e32 v14, v18, v21
	v_sub_f16_e32 v67, v56, v20
	v_add_f16_e32 v2, v2, v21
	v_fma_f16 v12, -0.5, v19, v4
	v_fmac_f16_e32 v4, -0.5, v70
	v_sub_f16_e32 v18, v21, v18
	v_add_f16_e32 v21, v60, v58
	v_add_f16_e32 v2, v2, v20
	v_fmamk_f16 v19, v11, 0xbb9c, v12
	v_fmac_f16_e32 v12, 0x3b9c, v11
	v_add_f16_e32 v14, v14, v67
	v_sub_f16_e32 v20, v20, v56
	v_add_f16_e32 v2, v2, v56
	v_fmac_f16_e32 v19, 0xb8b4, v10
	v_fmac_f16_e32 v12, 0x38b4, v10
	v_fmamk_f16 v56, v10, 0x3b9c, v4
	v_fmac_f16_e32 v4, 0xbb9c, v10
	v_add_f16_e32 v3, v21, v3
	v_mul_f16_e32 v10, 0x3a79, v57
	v_fmac_f16_e32 v12, 0x34f2, v14
	v_fmac_f16_e32 v56, 0xb8b4, v11
	;; [unrolled: 1-line block ×3, first 2 shown]
	v_add_f16_e32 v3, v3, v59
	v_fma_f16 v10, v63, 0xb8b4, -v10
	v_fmac_f16_e32 v19, 0x34f2, v14
	v_add_f16_e32 v14, v18, v20
	v_add_f16_e32 v20, v16, v15
	;; [unrolled: 1-line block ×3, first 2 shown]
	v_sub_f16_e32 v2, v2, v3
	v_add_f16_e32 v3, v12, v10
	v_sub_f16_e32 v10, v12, v10
	v_add_f16_e32 v12, v5, v13
	;; [unrolled: 2-line block ×3, first 2 shown]
	v_sub_f16_e32 v8, v8, v9
	v_fma_f16 v9, -0.5, v20, v5
	v_add_f16_e32 v12, v12, v16
	v_sub_f16_e32 v7, v13, v16
	v_sub_f16_e32 v21, v17, v15
	v_fmac_f16_e32 v5, -0.5, v57
	v_sub_f16_e32 v13, v16, v13
	v_add_f16_e32 v12, v12, v15
	v_fmamk_f16 v16, v6, 0xbb9c, v9
	v_fmac_f16_e32 v9, 0x3b9c, v6
	v_sub_f16_e32 v15, v15, v17
	v_fmamk_f16 v20, v8, 0x3b9c, v5
	v_add_f16_e32 v12, v12, v17
	v_add_f16_e32 v17, v114, v109
	v_fmac_f16_e32 v16, 0xb8b4, v8
	v_fmac_f16_e32 v9, 0x38b4, v8
	;; [unrolled: 1-line block ×3, first 2 shown]
	v_mul_f16_e32 v18, 0xb8b4, v62
	v_add_f16_e32 v8, v17, v110
	v_add_f16_e32 v7, v7, v21
	v_fmac_f16_e32 v20, 0xb8b4, v6
	v_mul_f16_e32 v17, 0x3a79, v112
	v_fmac_f16_e32 v5, 0x38b4, v6
	v_add_f16_e32 v8, v8, v115
	v_add_f16_e32 v6, v13, v15
	v_pack_b32_f16 v4, v4, v56
	v_mul_f16_e32 v14, 0x34f2, v14
	v_fmac_f16_e32 v18, 0x3a79, v61
	v_add_f16_e32 v15, v12, v8
	v_sub_f16_e32 v8, v12, v8
	v_pk_mul_f16 v12, 0x34f23b9c, v80
	v_fmac_f16_e32 v16, 0x34f2, v7
	v_fmac_f16_e32 v9, 0x34f2, v7
	v_mul_f16_e32 v7, 0xb8b4, v111
	v_fma_f16 v13, v113, 0xb8b4, -v17
	v_pack_b32_f16 v5, v5, v20
	v_mul_f16_e32 v6, 0x34f2, v6
	v_pk_mul_f16 v17, 0x34f23b9c, v71
	v_pk_add_f16 v4, v14, v4 op_sel_hi:[0,1]
	v_pk_fma_f16 v12, 0x34f2bb9c, v78, v12 op_sel:[0,0,1] op_sel_hi:[1,1,0] neg_lo:[0,0,1] neg_hi:[0,0,1]
	v_fmac_f16_e32 v7, 0x3a79, v116
	v_pk_add_f16 v5, v6, v5 op_sel_hi:[0,1]
	v_pk_fma_f16 v6, 0x34f2bb9c, v117, v17 op_sel:[0,0,1] op_sel_hi:[1,1,0] neg_lo:[0,0,1] neg_hi:[0,0,1]
	v_add_f16_e32 v14, v19, v18
	v_pk_add_f16 v21, v4, v12
	v_bfi_b32 v19, 0xffff, v19, v4
	v_bfi_b32 v18, 0xffff, v18, v12
	v_sub_f16_e32 v4, v4, v12
	v_lshl_add_u32 v52, v41, 1, 0
	v_add_f16_e32 v17, v9, v13
	v_sub_f16_e32 v9, v9, v13
	v_pk_add_f16 v20, v5, v6
	v_sub_f16_e32 v12, v5, v6
	v_alignbit_b32 v21, v21, v21, 16
	v_pack_b32_f16 v11, v11, v14
	v_bfi_b32 v5, 0xffff, v16, v5
	v_bfi_b32 v6, 0xffff, v7, v6
	v_and_b32_e32 v63, 0xff, v26
	v_lshl_add_u32 v53, v33, 1, 0
	v_pk_add_f16 v14, v19, v18 neg_lo:[0,1] neg_hi:[0,1]
	v_pack_b32_f16 v2, v3, v2
	v_lshl_add_u32 v54, v47, 1, 0
	v_pack_b32_f16 v3, v4, v10
	v_mad_i32_i24 v49, 0xffffffee, v0, v72
	v_mad_i32_i24 v37, 0xffffffee, v26, v50
	;; [unrolled: 1-line block ×3, first 2 shown]
	v_lshl_add_u32 v55, v45, 1, 0
	global_wb scope:SCOPE_SE
	s_wait_dscnt 0x0
	s_wait_kmcnt 0x0
	s_barrier_signal -1
	s_barrier_wait -1
	global_inv scope:SCOPE_SE
	ds_load_u16 v106, v52
	ds_load_u16 v104, v53
	;; [unrolled: 1-line block ×4, first 2 shown]
	ds_load_u16 v101, v49 offset:1536
	ds_load_u16 v98, v49 offset:1792
	;; [unrolled: 1-line block ×8, first 2 shown]
	ds_load_u16 v66, v35
	ds_load_u16 v68, v37
	;; [unrolled: 1-line block ×3, first 2 shown]
	ds_load_u16 v99, v49 offset:3072
	ds_load_u16 v103, v49 offset:2816
	ds_load_u16 v90, v49 offset:2304
	ds_load_u16 v100, v49 offset:5376
	ds_load_u16 v105, v49 offset:5120
	ds_load_u16 v88, v49 offset:4864
	ds_load_u16 v102, v49 offset:4096
	ds_load_u16 v107, v49 offset:3840
	ds_load_u16 v92, v49 offset:3584
	ds_load_u16 v82, v49 offset:6912
	ds_load_u16 v79, v49 offset:7168
	ds_load_u16 v77, v49 offset:7424
	ds_load_u16 v83, v49 offset:6656
	ds_load_u16 v87, v49 offset:6400
	ds_load_u16 v89, v49 offset:6144
	global_wb scope:SCOPE_SE
	s_wait_dscnt 0x0
	s_barrier_signal -1
	s_barrier_wait -1
	global_inv scope:SCOPE_SE
	ds_store_2addr_b32 v72, v75, v76 offset1:1
	ds_store_2addr_b32 v72, v86, v85 offset0:2 offset1:3
	v_add_f16_e32 v13, v16, v7
	ds_store_b32 v72, v81 offset:16
	v_pk_add_f16 v5, v5, v6 neg_lo:[0,1] neg_hi:[0,1]
	v_pack_b32_f16 v6, v17, v8
	v_pack_b32_f16 v8, v12, v9
	v_mul_u32_u24_e32 v9, 5, v108
	ds_store_2addr_b32 v50, v11, v21 offset1:1
	ds_store_2addr_b32 v50, v2, v14 offset0:2 offset1:3
	ds_store_b32 v50, v3 offset:16
	v_mul_lo_u16 v2, 0xcd, v63
	v_alignbit_b32 v4, v20, v20, 16
	v_pack_b32_f16 v7, v15, v13
	v_lshlrev_b32_e32 v67, 2, v9
	ds_store_2addr_b32 v51, v7, v4 offset1:1
	ds_store_2addr_b32 v51, v6, v5 offset0:2 offset1:3
	ds_store_b32 v51, v8 offset:16
	v_lshrrev_b16 v73, 11, v2
	global_wb scope:SCOPE_SE
	s_wait_dscnt 0x0
	s_barrier_signal -1
	s_barrier_wait -1
	global_inv scope:SCOPE_SE
	global_load_b128 v[18:21], v67, s[8:9]
	v_mul_lo_u16 v2, v73, 10
	v_and_b32_e32 v62, 0xffff, v28
	v_and_b32_e32 v61, 0xffff, v47
	;; [unrolled: 1-line block ×3, first 2 shown]
	v_mul_lo_u16 v39, 0x89, v39
	v_sub_nc_u16 v2, v26, v2
	v_cmp_gt_u32_e64 s0, 0x78, v0
	s_delay_alu instid0(VALU_DEP_3) | instskip(NEXT) | instid1(VALU_DEP_3)
	v_lshrrev_b16 v39, 13, v39
	v_and_b32_e32 v72, 0xff, v2
	v_mul_u32_u24_e32 v2, 0xcccd, v62
	s_delay_alu instid0(VALU_DEP_2) | instskip(NEXT) | instid1(VALU_DEP_2)
	v_mul_u32_u24_e32 v3, 5, v72
	v_lshrrev_b32_e32 v70, 19, v2
	v_lshlrev_b32_e32 v72, 1, v72
	s_delay_alu instid0(VALU_DEP_3) | instskip(NEXT) | instid1(VALU_DEP_3)
	v_lshlrev_b32_e32 v74, 2, v3
	v_mul_lo_u16 v2, v70, 10
	v_mul_u32_u24_e32 v70, 0x78, v70
	global_load_b128 v[14:17], v74, s[8:9]
	v_sub_nc_u16 v2, v28, v2
	s_delay_alu instid0(VALU_DEP_1) | instskip(SKIP_1) | instid1(VALU_DEP_2)
	v_and_b32_e32 v71, 0xffff, v2
	v_mul_u32_u24_e32 v2, 0xcccd, v61
	v_mul_u32_u24_e32 v3, 5, v71
	s_delay_alu instid0(VALU_DEP_2) | instskip(SKIP_1) | instid1(VALU_DEP_3)
	v_lshrrev_b32_e32 v58, 19, v2
	v_lshlrev_b32_e32 v71, 1, v71
	v_lshlrev_b32_e32 v75, 2, v3
	s_delay_alu instid0(VALU_DEP_3) | instskip(SKIP_1) | instid1(VALU_DEP_4)
	v_mul_lo_u16 v2, v58, 10
	v_mul_u32_u24_e32 v3, 0xcccd, v60
	v_add3_u32 v135, 0, v70, v71
	v_mul_u32_u24_e32 v58, 0x78, v58
	global_load_b128 v[10:13], v75, s[8:9]
	v_sub_nc_u16 v2, v47, v2
	v_lshrrev_b32_e32 v56, 19, v3
	s_delay_alu instid0(VALU_DEP_2) | instskip(NEXT) | instid1(VALU_DEP_1)
	v_and_b32_e32 v59, 0xffff, v2
	v_mul_u32_u24_e32 v2, 5, v59
	v_lshlrev_b32_e32 v59, 1, v59
	s_delay_alu instid0(VALU_DEP_2) | instskip(SKIP_1) | instid1(VALU_DEP_3)
	v_lshlrev_b32_e32 v76, 2, v2
	v_mul_lo_u16 v2, v56, 10
	v_add3_u32 v136, 0, v58, v59
	v_lshl_add_u32 v58, v38, 1, 0
	v_lshl_add_u32 v59, v40, 1, 0
	global_load_b128 v[6:9], v76, s[8:9]
	v_sub_nc_u16 v2, v45, v2
	s_delay_alu instid0(VALU_DEP_1) | instskip(NEXT) | instid1(VALU_DEP_1)
	v_and_b32_e32 v57, 0xffff, v2
	v_mul_u32_u24_e32 v2, 5, v57
	s_delay_alu instid0(VALU_DEP_1)
	v_lshlrev_b32_e32 v86, 2, v2
	s_clause 0x5
	global_load_b128 v[2:5], v86, s[8:9]
	global_load_b32 v85, v67, s[8:9] offset:16
	global_load_b32 v81, v74, s[8:9] offset:16
	;; [unrolled: 1-line block ×5, first 2 shown]
	ds_load_u16 v86, v52
	ds_load_u16 v108, v53
	ds_load_u16 v109, v49 offset:3840
	ds_load_u16 v110, v49 offset:5120
	;; [unrolled: 1-line block ×3, first 2 shown]
	ds_load_u16 v74, v54
	ds_load_u16 v67, v55
	;; [unrolled: 1-line block ×4, first 2 shown]
	ds_load_u16 v116, v49 offset:4096
	ds_load_u16 v117, v49 offset:4352
	;; [unrolled: 1-line block ×5, first 2 shown]
	s_wait_loadcnt 0x9
	v_lshrrev_b32_e32 v112, 16, v18
	v_lshrrev_b32_e32 v113, 16, v19
	;; [unrolled: 1-line block ×3, first 2 shown]
	s_wait_dscnt 0xd
	s_delay_alu instid0(VALU_DEP_3)
	v_mul_f16_e32 v115, v86, v112
	v_mul_f16_e32 v112, v106, v112
	s_wait_dscnt 0xb
	v_mul_f16_e32 v122, v109, v121
	v_mul_f16_e32 v121, v107, v121
	v_fma_f16 v106, v106, v18, -v115
	v_mul_f16_e32 v115, v108, v113
	v_mul_f16_e32 v113, v104, v113
	v_fmac_f16_e32 v112, v86, v18
	ds_load_u16 v18, v49 offset:3584
	v_lshrrev_b32_e32 v86, 16, v21
	v_fma_f16 v104, v104, v19, -v115
	ds_load_u16 v115, v49 offset:2816
	v_fmac_f16_e32 v113, v108, v19
	v_fmac_f16_e32 v121, v109, v20
	s_wait_dscnt 0xc
	v_mul_f16_e32 v123, v110, v86
	v_mul_f16_e32 v19, v105, v86
	v_fma_f16 v86, v107, v20, -v122
	ds_load_u16 v107, v49 offset:1792
	ds_load_u16 v108, v49 offset:2048
	;; [unrolled: 1-line block ×5, first 2 shown]
	ds_load_u16 v125, v49
	v_fma_f16 v105, v105, v21, -v123
	s_wait_loadcnt 0x8
	v_lshrrev_b32_e32 v20, 16, v14
	v_lshrrev_b32_e32 v127, 16, v15
	v_fmac_f16_e32 v19, v110, v21
	v_lshrrev_b32_e32 v21, 16, v16
	v_lshrrev_b32_e32 v110, 16, v17
	s_wait_dscnt 0x8
	v_mul_f16_e32 v126, v120, v20
	v_mul_f16_e32 v123, v101, v20
	s_delay_alu instid0(VALU_DEP_2) | instskip(SKIP_2) | instid1(VALU_DEP_3)
	v_fma_f16 v101, v101, v14, -v126
	s_wait_dscnt 0x6
	v_mul_f16_e32 v20, v115, v127
	v_fmac_f16_e32 v123, v120, v14
	v_mul_f16_e32 v14, v103, v127
	s_delay_alu instid0(VALU_DEP_3) | instskip(SKIP_2) | instid1(VALU_DEP_4)
	v_fma_f16 v103, v103, v15, -v20
	v_mul_f16_e32 v20, v116, v21
	v_mul_f16_e32 v21, v102, v21
	v_fmac_f16_e32 v14, v115, v15
	v_mul_f16_e32 v15, v111, v110
	s_wait_loadcnt 0x7
	v_lshrrev_b32_e32 v115, 16, v10
	v_fma_f16 v20, v102, v16, -v20
	v_fmac_f16_e32 v21, v116, v16
	v_mul_f16_e32 v16, v100, v110
	ds_load_u16 v110, v49 offset:5632
	v_fma_f16 v15, v100, v17, -v15
	s_wait_dscnt 0x6
	v_mul_f16_e32 v100, v107, v115
	v_lshrrev_b32_e32 v102, 16, v11
	v_fmac_f16_e32 v16, v111, v17
	v_mul_f16_e32 v111, v98, v115
	v_lshrrev_b32_e32 v17, 16, v12
	v_fma_f16 v98, v98, v10, -v100
	s_wait_dscnt 0x4
	v_mul_f16_e32 v100, v109, v102
	v_mul_f16_e32 v102, v99, v102
	v_fmac_f16_e32 v111, v107, v10
	v_mul_f16_e32 v115, v117, v17
	v_mul_f16_e32 v17, v97, v17
	v_fma_f16 v10, v99, v11, -v100
	v_fmac_f16_e32 v102, v109, v11
	v_lshrrev_b32_e32 v11, 16, v13
	ds_load_u16 v100, v49 offset:6912
	ds_load_u16 v107, v49 offset:7168
	;; [unrolled: 1-line block ×7, first 2 shown]
	s_wait_loadcnt 0x6
	v_lshrrev_b32_e32 v99, 16, v6
	v_fma_f16 v97, v97, v12, -v115
	v_fmac_f16_e32 v17, v117, v12
	s_wait_dscnt 0x7
	v_mul_f16_e64 v128, v110, v11
	v_mul_f16_e32 v11, v96, v11
	v_mul_f16_e32 v12, v108, v99
	;; [unrolled: 1-line block ×3, first 2 shown]
	v_lshrrev_b32_e32 v115, 16, v7
	v_fma_f16 v96, v96, v13, -v128
	v_fmac_f16_e32 v11, v110, v13
	v_lshrrev_b32_e32 v13, 16, v8
	v_fma_f16 v12, v95, v6, -v12
	v_fmac_f16_e32 v99, v108, v6
	v_mul_f16_e32 v6, v122, v115
	v_mul_f16_e32 v108, v94, v115
	v_lshrrev_b32_e32 v95, 16, v9
	v_mul_f16_e32 v110, v118, v13
	v_mul_f16_e32 v13, v93, v13
	v_fma_f16 v115, v94, v7, -v6
	v_fmac_f16_e32 v108, v122, v7
	s_wait_dscnt 0x3
	v_mul_f16_e32 v6, v116, v95
	v_fma_f16 v7, v93, v8, -v110
	s_wait_loadcnt 0x5
	v_lshrrev_b32_e32 v93, 16, v2
	v_fmac_f16_e32 v13, v118, v8
	v_mul_f16_e32 v8, v91, v95
	v_fma_f16 v110, v91, v9, -v6
	v_lshrrev_b32_e32 v91, 16, v3
	v_mul_f16_e32 v6, v124, v93
	v_mul_f16_e32 v117, v90, v93
	v_fmac_f16_e32 v8, v116, v9
	v_lshrrev_b32_e32 v9, 16, v4
	v_mul_f16_e32 v93, v18, v91
	v_fma_f16 v6, v90, v2, -v6
	v_fmac_f16_e32 v117, v124, v2
	v_mul_f16_e32 v116, v92, v91
	v_mul_f16_e32 v2, v119, v9
	v_lshrrev_b32_e32 v90, 16, v5
	v_mul_f16_e32 v9, v88, v9
	v_fma_f16 v118, v92, v3, -v93
	v_fmac_f16_e32 v116, v18, v3
	v_fma_f16 v2, v88, v4, -v2
	s_wait_loadcnt 0x4
	v_lshrrev_b32_e32 v3, 16, v85
	s_wait_dscnt 0x2
	v_mul_f16_e32 v18, v120, v90
	v_fmac_f16_e32 v9, v119, v4
	v_mul_f16_e32 v4, v89, v90
	s_wait_loadcnt 0x3
	v_lshrrev_b32_e32 v88, 16, v81
	s_wait_dscnt 0x0
	v_mul_f16_e32 v90, v127, v3
	v_fma_f16 v119, v89, v5, -v18
	v_mul_f16_e32 v3, v87, v3
	v_fmac_f16_e32 v4, v120, v5
	v_mul_f16_e32 v5, v126, v88
	s_wait_loadcnt 0x2
	v_lshrrev_b32_e32 v18, 16, v80
	v_fma_f16 v87, v87, v85, -v90
	v_mul_f16_e32 v120, v83, v88
	v_fmac_f16_e32 v3, v127, v85
	v_fma_f16 v5, v83, v81, -v5
	v_mul_f16_e32 v83, v100, v18
	s_wait_loadcnt 0x1
	v_lshrrev_b32_e32 v85, 16, v78
	v_fmac_f16_e32 v120, v126, v81
	v_mul_f16_e32 v122, v82, v18
	s_wait_loadcnt 0x0
	v_lshrrev_b32_e32 v18, 16, v76
	v_fma_f16 v81, v82, v80, -v83
	v_mul_f16_e32 v82, v107, v85
	v_mul_f16_e32 v124, v79, v85
	v_fmac_f16_e32 v122, v100, v80
	v_mul_f16_e32 v80, v109, v18
	v_mul_f16_e32 v100, v77, v18
	v_fma_f16 v18, v79, v78, -v82
	v_fmac_f16_e32 v124, v107, v78
	v_add_f16_e32 v78, v104, v105
	v_fma_f16 v77, v77, v76, -v80
	v_add_f16_e32 v79, v69, v104
	v_sub_f16_e32 v80, v113, v19
	v_add_f16_e32 v82, v86, v87
	v_fmac_f16_e32 v69, -0.5, v78
	v_add_f16_e32 v85, v121, v3
	v_fmac_f16_e32 v100, v109, v76
	v_add_f16_e32 v76, v113, v19
	v_add_f16_e32 v78, v125, v113
	v_fmamk_f16 v83, v80, 0x3aee, v69
	v_fmac_f16_e32 v69, 0xbaee, v80
	v_add_f16_e32 v80, v106, v86
	v_fmac_f16_e32 v106, -0.5, v82
	v_add_f16_e32 v82, v112, v121
	v_fmac_f16_e32 v112, -0.5, v85
	v_sub_f16_e32 v85, v86, v87
	v_sub_f16_e32 v86, v121, v3
	v_fmac_f16_e32 v125, -0.5, v76
	v_add_f16_e32 v76, v79, v105
	v_sub_f16_e32 v79, v104, v105
	v_add_f16_e32 v19, v78, v19
	v_fmamk_f16 v88, v86, 0x3aee, v106
	v_fmac_f16_e32 v106, 0xbaee, v86
	v_add_f16_e32 v3, v82, v3
	v_fmamk_f16 v78, v79, 0xbaee, v125
	v_fmac_f16_e32 v125, 0x3aee, v79
	v_fmamk_f16 v79, v85, 0xbaee, v112
	v_fmac_f16_e32 v112, 0x3aee, v85
	v_mul_f16_e32 v86, 0xbaee, v88
	v_add_f16_e32 v104, v19, v3
	v_sub_f16_e32 v105, v19, v3
	v_mul_f16_e32 v85, 0x3aee, v79
	v_mul_f16_e32 v89, -0.5, v112
	v_fmac_f16_e32 v86, 0.5, v79
	v_add_f16_e32 v3, v21, v120
	v_add_f16_e32 v80, v80, v87
	v_mul_f16_e32 v87, -0.5, v106
	v_fmac_f16_e32 v85, 0.5, v88
	v_fmac_f16_e32 v89, 0xbaee, v106
	v_add_f16_e32 v106, v78, v86
	v_sub_f16_e32 v107, v78, v86
	v_add_f16_e32 v78, v20, v5
	v_add_f16_e32 v113, v123, v21
	v_fmac_f16_e32 v123, -0.5, v3
	v_sub_f16_e32 v3, v20, v5
	v_add_f16_e32 v79, v76, v80
	v_sub_f16_e32 v76, v76, v80
	v_add_f16_e32 v80, v83, v85
	;; [unrolled: 2-line block ×3, first 2 shown]
	v_add_f16_e32 v85, v101, v20
	v_fmac_f16_e32 v101, -0.5, v78
	v_sub_f16_e32 v20, v21, v120
	v_fmamk_f16 v121, v3, 0xbaee, v123
	v_fmac_f16_e32 v87, 0x3aee, v112
	v_add_f16_e32 v109, v125, v89
	v_sub_f16_e32 v112, v125, v89
	v_add_f16_e32 v21, v68, v103
	v_fmac_f16_e32 v68, -0.5, v19
	v_sub_f16_e32 v19, v14, v16
	v_fmamk_f16 v125, v20, 0x3aee, v101
	v_fmac_f16_e32 v101, 0xbaee, v20
	v_mul_f16_e32 v20, 0x3aee, v121
	v_add_f16_e32 v5, v85, v5
	v_fmac_f16_e32 v123, 0x3aee, v3
	v_add_f16_e32 v3, v21, v15
	v_fmamk_f16 v78, v19, 0x3aee, v68
	v_fmac_f16_e32 v20, 0.5, v125
	v_fmac_f16_e32 v68, 0xbaee, v19
	v_add_f16_e32 v86, v17, v122
	v_add_f16_e32 v19, v3, v5
	v_sub_f16_e32 v3, v3, v5
	v_add_f16_e32 v5, v78, v20
	v_sub_f16_e32 v20, v78, v20
	v_add_f16_e32 v78, v97, v81
	v_mul_f16_e32 v21, -0.5, v101
	v_add_f16_e32 v88, v98, v97
	v_add_f16_e32 v126, v111, v17
	v_fmac_f16_e32 v111, -0.5, v86
	v_fmac_f16_e32 v98, -0.5, v78
	v_sub_f16_e32 v78, v97, v81
	v_sub_f16_e32 v17, v17, v122
	v_add_f16_e32 v83, v69, v87
	v_sub_f16_e32 v69, v69, v87
	v_fmac_f16_e32 v21, 0x3aee, v123
	v_add_f16_e32 v87, v10, v96
	v_fmamk_f16 v97, v78, 0xbaee, v111
	v_fmamk_f16 v127, v17, 0x3aee, v98
	v_fmac_f16_e32 v98, 0xbaee, v17
	v_add_f16_e32 v85, v68, v21
	v_sub_f16_e32 v21, v68, v21
	v_add_f16_e32 v68, v66, v10
	v_fmac_f16_e32 v66, -0.5, v87
	v_sub_f16_e32 v17, v102, v11
	v_mul_f16_e32 v86, 0x3aee, v97
	v_fmac_f16_e32 v111, 0x3aee, v78
	v_mul_f16_e32 v78, -0.5, v98
	v_add_f16_e32 v81, v88, v81
	v_add_f16_e32 v68, v68, v96
	v_fmamk_f16 v87, v17, 0x3aee, v66
	v_fmac_f16_e32 v86, 0.5, v127
	v_fmac_f16_e32 v66, 0xbaee, v17
	v_fmac_f16_e32 v78, 0x3aee, v111
	v_add_f16_e32 v17, v68, v81
	v_sub_f16_e32 v68, v68, v81
	v_add_f16_e32 v81, v87, v86
	v_sub_f16_e32 v86, v87, v86
	;; [unrolled: 2-line block ×3, first 2 shown]
	v_add_f16_e32 v78, v13, v124
	v_add_f16_e32 v89, v7, v18
	;; [unrolled: 1-line block ×3, first 2 shown]
	v_add_f16_e64 v128, v99, v13
	v_sub_f16_e32 v7, v7, v18
	v_fmac_f16_e32 v99, -0.5, v78
	v_add_f16_e32 v88, v115, v110
	v_fmac_f16_e32 v12, -0.5, v89
	v_sub_f16_e32 v13, v13, v124
	v_add_f16_e32 v78, v65, v115
	v_fma_f16 v129, 0xbaee, v7, v99
	v_fmac_f16_e32 v65, -0.5, v88
	v_sub_f16_e32 v88, v108, v8
	v_fma_f16 v130, 0x3aee, v13, v12
	v_fmac_f16_e32 v12, 0xbaee, v13
	v_add_f16_e32 v13, v90, v18
	v_mul_f16_e64 v18, 0x3aee, v129
	v_fmac_f16_e32 v99, 0x3aee, v7
	v_add_f16_e32 v7, v78, v110
	v_fmamk_f16 v89, v88, 0x3aee, v65
	v_fmac_f16_e32 v65, 0xbaee, v88
	v_fmac_f16_e64 v18, 0.5, v130
	v_add_f16_e32 v91, v9, v100
	v_add_f16_e32 v88, v7, v13
	v_sub_f16_e32 v7, v7, v13
	v_mul_f16_e32 v78, -0.5, v12
	v_add_f16_e32 v13, v89, v18
	v_sub_f16_e32 v18, v89, v18
	v_add_f16_e32 v89, v2, v77
	v_add_f16_e32 v93, v6, v2
	v_add_f16_e64 v131, v117, v9
	v_fmac_f16_e32 v117, -0.5, v91
	v_sub_f16_e32 v2, v2, v77
	v_fmac_f16_e32 v6, -0.5, v89
	v_sub_f16_e32 v9, v9, v100
	v_fmac_f16_e32 v78, 0x3aee, v99
	v_add_f16_e32 v92, v118, v119
	v_fma_f16 v132, 0xbaee, v2, v117
	v_fmac_f16_e32 v117, 0x3aee, v2
	v_fma_f16 v133, 0x3aee, v9, v6
	v_fmac_f16_e32 v6, 0xbaee, v9
	v_add_f16_e32 v90, v65, v78
	v_sub_f16_e32 v65, v65, v78
	v_add_f16_e32 v78, v64, v118
	v_fmac_f16_e32 v64, -0.5, v92
	v_sub_f16_e32 v9, v116, v4
	v_mul_f16_e64 v89, 0x3aee, v132
	v_mul_f16_e32 v2, -0.5, v6
	v_add_f16_e32 v77, v93, v77
	v_add_f16_e32 v78, v78, v119
	v_fmamk_f16 v91, v9, 0x3aee, v64
	v_fmac_f16_e64 v89, 0.5, v133
	v_fmac_f16_e32 v64, 0xbaee, v9
	v_fmac_f16_e32 v2, 0x3aee, v117
	v_add_f16_e32 v9, v78, v77
	v_sub_f16_e32 v77, v78, v77
	v_add_f16_e32 v78, v91, v89
	v_sub_f16_e32 v89, v91, v89
	;; [unrolled: 2-line block ×3, first 2 shown]
	v_and_b32_e32 v64, 0xffff, v73
	global_wb scope:SCOPE_SE
	s_barrier_signal -1
	s_barrier_wait -1
	global_inv scope:SCOPE_SE
	v_mul_u32_u24_e32 v64, 0x78, v64
	ds_store_b16 v84, v79
	ds_store_b16 v84, v80 offset:20
	ds_store_b16 v84, v83 offset:40
	;; [unrolled: 1-line block ×5, first 2 shown]
	v_add3_u32 v134, 0, v64, v72
	ds_store_b16 v134, v19
	ds_store_b16 v134, v5 offset:20
	ds_store_b16 v134, v85 offset:40
	;; [unrolled: 1-line block ×5, first 2 shown]
	v_mul_u32_u24_e32 v3, 0x78, v56
	v_lshlrev_b32_e32 v5, 1, v57
	ds_store_b16 v135, v17
	ds_store_b16 v135, v81 offset:20
	ds_store_b16 v135, v87 offset:40
	;; [unrolled: 1-line block ×5, first 2 shown]
	v_lshl_add_u32 v56, v34, 1, 0
	v_lshl_add_u32 v57, v36, 1, 0
	;; [unrolled: 1-line block ×3, first 2 shown]
	v_add3_u32 v17, 0, v3, v5
	v_add_f16_e32 v5, v14, v16
	ds_store_b16 v136, v88
	ds_store_b16 v136, v13 offset:20
	ds_store_b16 v136, v90 offset:40
	;; [unrolled: 1-line block ×5, first 2 shown]
	ds_store_b16 v17, v9
	ds_store_b16 v17, v78 offset:20
	ds_store_b16 v17, v91 offset:40
	;; [unrolled: 1-line block ×5, first 2 shown]
	v_add_f16_e32 v7, v114, v14
	v_mul_f16_e32 v9, 0xbaee, v125
	v_mul_f16_e32 v13, -0.5, v123
	v_fmac_f16_e32 v114, -0.5, v5
	v_sub_f16_e32 v5, v103, v15
	v_add_f16_e32 v7, v7, v16
	v_add_f16_e32 v15, v113, v120
	v_fmac_f16_e32 v9, 0.5, v121
	v_fmac_f16_e32 v13, 0xbaee, v101
	v_fmamk_f16 v14, v5, 0xbaee, v114
	v_fmac_f16_e32 v114, 0x3aee, v5
	v_add_f16_e32 v5, v7, v15
	v_sub_f16_e32 v7, v7, v15
	global_wb scope:SCOPE_SE
	s_wait_dscnt 0x0
	v_add_f16_e32 v15, v14, v9
	v_sub_f16_e32 v9, v14, v9
	v_add_f16_e32 v14, v102, v11
	v_add_f16_e32 v16, v114, v13
	s_barrier_signal -1
	s_barrier_wait -1
	global_inv scope:SCOPE_SE
	ds_load_u16 v68, v52
	v_lshl_add_u32 v18, v43, 1, 0
	v_lshl_add_u32 v20, v31, 1, 0
	;; [unrolled: 1-line block ×3, first 2 shown]
	ds_load_u16 v90, v49
	ds_load_u16 v95, v49 offset:3840
	ds_load_u16 v94, v49 offset:4096
	;; [unrolled: 1-line block ×7, first 2 shown]
	ds_load_u16 v72, v18
	ds_load_u16 v71, v19
	;; [unrolled: 1-line block ×13, first 2 shown]
	ds_load_u16 v93, v49 offset:5632
	ds_load_u16 v83, v49 offset:5888
	;; [unrolled: 1-line block ×8, first 2 shown]
	global_wb scope:SCOPE_SE
	s_wait_dscnt 0x0
	s_barrier_signal -1
	s_barrier_wait -1
	global_inv scope:SCOPE_SE
	ds_store_b16 v84, v104
	ds_store_b16 v84, v106 offset:20
	ds_store_b16 v84, v109 offset:40
	;; [unrolled: 1-line block ×5, first 2 shown]
	v_add_f16_e32 v84, v75, v102
	v_sub_f16_e32 v13, v114, v13
	ds_store_b16 v134, v5
	ds_store_b16 v134, v15 offset:20
	ds_store_b16 v134, v16 offset:40
	;; [unrolled: 1-line block ×5, first 2 shown]
	v_fmac_f16_e32 v75, -0.5, v14
	v_sub_f16_e32 v5, v10, v96
	v_mul_f16_e32 v7, 0xbaee, v127
	v_mul_f16_e32 v10, -0.5, v111
	v_add_f16_e32 v9, v84, v11
	v_add_f16_e32 v11, v126, v122
	v_fmamk_f16 v13, v5, 0xbaee, v75
	v_fmac_f16_e32 v7, 0.5, v97
	v_fmac_f16_e32 v75, 0x3aee, v5
	v_fmac_f16_e32 v10, 0xbaee, v98
	v_add_f16_e32 v5, v9, v11
	v_add_f16_e32 v15, v74, v108
	v_sub_f16_e32 v9, v9, v11
	v_add_f16_e32 v11, v13, v7
	v_sub_f16_e32 v7, v13, v7
	;; [unrolled: 2-line block ×3, first 2 shown]
	v_add_f16_e32 v14, v108, v8
	ds_store_b16 v135, v5
	ds_store_b16 v135, v11 offset:20
	ds_store_b16 v135, v13 offset:40
	;; [unrolled: 1-line block ×5, first 2 shown]
	v_add_f16_e32 v5, v15, v8
	v_mul_f16_e32 v9, -0.5, v99
	v_add_f16_e64 v10, v128, v124
	v_fmac_f16_e32 v74, -0.5, v14
	v_sub_f16_e32 v14, v115, v110
	v_add_f16_e32 v11, v116, v4
	v_fmac_f16_e32 v9, 0xbaee, v12
	v_add_f16_e32 v12, v5, v10
	v_sub_f16_e32 v10, v5, v10
	v_add_f16_e32 v5, v67, v116
	v_fmamk_f16 v8, v14, 0xbaee, v74
	v_fmac_f16_e32 v74, 0x3aee, v14
	v_fmac_f16_e32 v67, -0.5, v11
	v_sub_f16_e32 v11, v118, v119
	v_mul_f16_e64 v14, 0xbaee, v133
	v_add_f16_e32 v4, v5, v4
	v_mul_f16_e32 v5, -0.5, v117
	v_mul_f16_e64 v7, 0xbaee, v130
	v_add_f16_e64 v15, v131, v100
	v_fmamk_f16 v16, v11, 0xbaee, v67
	v_fmac_f16_e64 v14, 0.5, v132
	v_fmac_f16_e32 v67, 0x3aee, v11
	v_fmac_f16_e32 v5, 0xbaee, v6
	v_fmac_f16_e64 v7, 0.5, v129
	v_add_f16_e32 v6, v4, v15
	v_sub_f16_e32 v4, v4, v15
	v_add_f16_e32 v11, v16, v14
	v_sub_f16_e32 v14, v16, v14
	v_add_f16_e32 v15, v67, v5
	v_sub_f16_e32 v16, v67, v5
	v_mul_lo_u16 v5, 0x89, v63
	v_add_f16_e32 v13, v8, v7
	v_sub_f16_e32 v7, v8, v7
	v_add_f16_e32 v8, v74, v9
	v_sub_f16_e32 v9, v74, v9
	v_mul_lo_u16 v67, v39, 60
	ds_store_b16 v136, v12
	ds_store_b16 v136, v13 offset:20
	ds_store_b16 v136, v8 offset:40
	;; [unrolled: 1-line block ×5, first 2 shown]
	v_lshrrev_b16 v63, 13, v5
	v_mul_u32_u24_e32 v9, 0x8889, v62
	ds_store_b16 v17, v6
	ds_store_b16 v17, v11 offset:20
	ds_store_b16 v17, v15 offset:40
	;; [unrolled: 1-line block ×5, first 2 shown]
	v_sub_nc_u16 v7, v0, v67
	v_and_b32_e32 v14, 0xffff, v43
	v_mul_lo_u16 v4, v63, 60
	v_lshrrev_b32_e32 v62, 21, v9
	v_and_b32_e32 v15, 0xffff, v30
	v_and_b32_e32 v96, 0xff, v7
	v_mul_u32_u24_e32 v7, 0x8889, v60
	v_sub_nc_u16 v8, v26, v4
	v_mul_lo_u16 v6, v62, 60
	v_mul_u32_u24_e32 v4, 0x8889, v61
	v_lshlrev_b32_e32 v11, 2, v96
	v_lshrrev_b32_e32 v60, 21, v7
	v_and_b32_e32 v105, 0xff, v8
	v_sub_nc_u16 v6, v28, v6
	v_lshrrev_b32_e32 v61, 21, v4
	v_and_b32_e32 v17, 0xffff, v31
	v_mul_lo_u16 v10, v60, 60
	v_lshlrev_b32_e32 v12, 2, v105
	v_and_b32_e32 v67, 0xffff, v6
	v_and_b32_e32 v6, 0xffff, v41
	v_mul_lo_u16 v8, v61, 60
	v_sub_nc_u16 v10, v45, v10
	global_wb scope:SCOPE_SE
	s_wait_dscnt 0x0
	v_lshlrev_b32_e32 v13, 2, v67
	v_mul_u32_u24_e32 v6, 0x8889, v6
	v_sub_nc_u16 v8, v47, v8
	v_and_b32_e32 v114, 0xffff, v10
	v_mul_u32_u24_e32 v10, 0x8889, v15
	s_barrier_signal -1
	v_lshrrev_b32_e32 v106, 21, v6
	v_and_b32_e32 v111, 0xffff, v8
	v_mul_u32_u24_e32 v8, 0x8889, v14
	v_lshrrev_b32_e32 v107, 21, v10
	s_barrier_wait -1
	v_mul_lo_u16 v14, v106, 60
	v_lshlrev_b32_e32 v15, 2, v111
	v_lshrrev_b32_e32 v108, 21, v8
	v_mul_lo_u16 v84, v107, 60
	global_inv scope:SCOPE_SE
	v_sub_nc_u16 v14, v41, v14
	global_load_b32 v75, v11, s[8:9] offset:200
	v_mul_lo_u16 v74, v108, 60
	s_clause 0x1
	global_load_b32 v98, v13, s[8:9] offset:200
	global_load_b32 v99, v15, s[8:9] offset:200
	v_and_b32_e32 v115, 0xffff, v14
	v_lshlrev_b32_e32 v16, 2, v114
	v_sub_nc_u16 v14, v43, v74
	v_sub_nc_u16 v74, v30, v84
	global_load_b32 v84, v12, s[8:9] offset:200
	v_mul_u32_u24_e32 v11, 0x8889, v17
	v_and_b32_e32 v17, 0xffff, v32
	v_and_b32_e32 v116, 0xffff, v14
	v_and_b32_e32 v117, 0xffff, v74
	v_lshlrev_b32_e32 v97, 2, v115
	v_lshrrev_b32_e32 v118, 21, v11
	v_mul_u32_u24_e32 v12, 0x8889, v17
	v_lshlrev_b32_e32 v13, 2, v116
	v_lshlrev_b32_e32 v15, 2, v117
	s_clause 0x3
	global_load_b32 v100, v16, s[8:9] offset:200
	global_load_b32 v97, v97, s[8:9] offset:200
	;; [unrolled: 1-line block ×4, first 2 shown]
	v_mul_lo_u16 v14, v118, 60
	v_lshrrev_b32_e32 v119, 21, v12
	v_and_b32_e32 v15, 0xffff, v34
	v_and_b32_e32 v16, 0xffff, v36
	;; [unrolled: 1-line block ×3, first 2 shown]
	v_sub_nc_u16 v17, v31, v14
	v_and_b32_e32 v14, 0xffff, v33
	v_mul_lo_u16 v74, v119, 60
	v_mul_u32_u24_e32 v15, 0x8889, v15
	v_and_b32_e32 v39, 0xffff, v39
	v_and_b32_e32 v120, 0xffff, v17
	v_mul_u32_u24_e32 v14, 0x8889, v14
	v_sub_nc_u16 v13, v32, v74
	v_and_b32_e32 v17, 0xffff, v38
	v_lshrrev_b32_e32 v123, 21, v15
	v_lshlrev_b32_e32 v74, 2, v120
	v_lshrrev_b32_e32 v121, 21, v14
	v_and_b32_e32 v122, 0xffff, v13
	v_mul_u32_u24_e32 v13, 0x8889, v16
	v_mul_u32_u24_e32 v17, 0x8889, v17
	v_mul_lo_u16 v109, v123, 60
	v_mul_lo_u16 v16, v121, 60
	v_lshlrev_b32_e32 v103, 2, v122
	v_lshrrev_b32_e32 v124, 21, v13
	v_lshrrev_b32_e32 v127, 21, v17
	v_mul_u32_u24_e32 v39, 0xf0, v39
	v_sub_nc_u16 v16, v33, v16
	global_load_b32 v103, v103, s[8:9] offset:200
	v_mul_lo_u16 v110, v124, 60
	v_and_b32_e32 v63, 0xffff, v63
	v_lshlrev_b32_e32 v105, 1, v105
	v_and_b32_e32 v126, 0xffff, v16
	v_mul_u32_u24_e32 v16, 0x8889, v104
	v_sub_nc_u16 v104, v34, v109
	v_sub_nc_u16 v109, v36, v110
	global_load_b32 v110, v74, s[8:9] offset:200
	v_lshlrev_b32_e32 v112, 2, v126
	v_lshrrev_b32_e32 v128, 21, v16
	v_and_b32_e32 v129, 0xffff, v104
	v_and_b32_e32 v130, 0xffff, v109
	v_mul_u32_u24_e32 v63, 0xf0, v63
	global_load_b32 v109, v112, s[8:9] offset:200
	v_mul_lo_u16 v74, v127, 60
	v_mul_lo_u16 v104, v128, 60
	v_lshlrev_b32_e32 v112, 2, v129
	v_lshlrev_b32_e32 v113, 2, v130
	v_mul_u32_u24_e32 v62, 0xf0, v62
	v_sub_nc_u16 v74, v38, v74
	v_mul_u32_u24_e32 v61, 0xf0, v61
	v_mul_u32_u24_e32 v60, 0xf0, v60
	v_lshrrev_b32_e32 v9, 22, v9
	s_delay_alu instid0(VALU_DEP_4)
	v_and_b32_e32 v131, 0xffff, v74
	v_sub_nc_u16 v74, v40, v104
	s_clause 0x1
	global_load_b32 v104, v112, s[8:9] offset:200
	global_load_b32 v112, v113, s[8:9] offset:200
	v_lshlrev_b32_e32 v113, 2, v131
	v_and_b32_e32 v132, 0xffff, v74
	global_load_b32 v113, v113, s[8:9] offset:200
	v_lshlrev_b32_e32 v74, 2, v132
	global_load_b32 v133, v74, s[8:9] offset:200
	ds_load_u16 v74, v49 offset:3840
	ds_load_u16 v134, v49 offset:4096
	;; [unrolled: 1-line block ×7, first 2 shown]
	ds_load_u16 v140, v49
	s_wait_loadcnt 0xe
	v_lshrrev_b32_e32 v125, 16, v75
	s_wait_dscnt 0x7
	s_delay_alu instid0(VALU_DEP_1) | instskip(SKIP_3) | instid1(VALU_DEP_3)
	v_mul_f16_e64 v141, v74, v125
	v_mul_f16_e64 v143, v95, v125
	s_wait_loadcnt 0xb
	v_lshrrev_b32_e32 v142, 16, v84
	v_fma_f16 v95, v95, v75, -v141
	s_delay_alu instid0(VALU_DEP_3)
	v_fmac_f16_e64 v143, v74, v75
	v_lshrrev_b32_e32 v74, 16, v99
	s_wait_dscnt 0x6
	v_mul_f16_e64 v141, v134, v142
	v_mul_f16_e64 v125, v94, v142
	v_lshrrev_b32_e32 v142, 16, v98
	s_delay_alu instid0(VALU_DEP_3) | instskip(NEXT) | instid1(VALU_DEP_3)
	v_fma_f16 v141, v94, v84, -v141
	v_fmac_f16_e64 v125, v134, v84
	s_wait_dscnt 0x5
	s_delay_alu instid0(VALU_DEP_3)
	v_mul_f16_e64 v84, v135, v142
	s_wait_loadcnt 0xa
	v_lshrrev_b32_e32 v134, 16, v100
	v_mul_f16_e64 v75, v81, v142
	s_wait_dscnt 0x4
	v_mul_f16_e64 v94, v136, v74
	v_mul_f16_e32 v74, v76, v74
	v_fma_f16 v142, v81, v98, -v84
	s_wait_dscnt 0x3
	v_mul_f16_e64 v81, v137, v134
	v_fmac_f16_e64 v75, v135, v98
	v_fma_f16 v135, v76, v99, -v94
	s_wait_loadcnt 0x9
	v_lshrrev_b32_e32 v84, 16, v97
	ds_load_u16 v94, v49 offset:5632
	v_mul_f16_e64 v76, v77, v134
	v_fma_f16 v134, v77, v100, -v81
	s_wait_loadcnt 0x8
	v_lshrrev_b32_e32 v81, 16, v101
	s_wait_dscnt 0x3
	v_mul_f16_e64 v98, v138, v84
	v_mul_f16_e32 v77, v79, v84
	ds_load_u16 v84, v49 offset:5888
	v_fmac_f16_e64 v76, v137, v100
	ds_load_u16 v100, v49 offset:6144
	v_fmac_f16_e64 v74, v136, v99
	s_wait_dscnt 0x4
	v_mul_f16_e64 v99, v139, v81
	v_fma_f16 v136, v79, v97, -v98
	v_fmac_f16_e64 v77, v138, v97
	v_mul_f16_e32 v79, v80, v81
	s_delay_alu instid0(VALU_DEP_4)
	v_fma_f16 v137, v80, v101, -v99
	ds_load_u16 v97, v49 offset:6400
	ds_load_u16 v98, v49 offset:6656
	;; [unrolled: 1-line block ×5, first 2 shown]
	s_wait_loadcnt 0x7
	v_lshrrev_b32_e32 v80, 16, v102
	v_fmac_f16_e64 v79, v139, v101
	s_wait_loadcnt 0x6
	v_lshrrev_b32_e32 v101, 16, v103
	s_wait_dscnt 0x7
	v_mul_f16_e32 v81, v94, v80
	v_mul_f16_e32 v80, v93, v80
	s_wait_loadcnt 0x5
	v_lshrrev_b32_e32 v145, 16, v110
	s_delay_alu instid0(VALU_DEP_3) | instskip(NEXT) | instid1(VALU_DEP_3)
	v_fma_f16 v139, v93, v102, -v81
	v_fmac_f16_e32 v80, v94, v102
	s_wait_dscnt 0x5
	v_mul_f16_e32 v94, v100, v101
	v_mul_f16_e64 v93, v84, v145
	v_mul_f16_e64 v81, v83, v145
	s_wait_loadcnt 0x4
	v_lshrrev_b32_e32 v102, 16, v109
	v_fma_f16 v146, v92, v103, -v94
	v_fma_f16 v145, v83, v110, -v93
	v_fmac_f16_e32 v81, v84, v110
	v_mul_f16_e32 v83, v92, v101
	s_wait_dscnt 0x4
	v_mul_f16_e32 v92, v97, v102
	v_mul_f16_e32 v84, v86, v102
	v_sub_f16_e32 v110, v90, v95
	v_fmac_f16_e32 v83, v100, v103
	s_wait_loadcnt 0x3
	v_lshrrev_b32_e32 v93, 16, v104
	s_wait_loadcnt 0x2
	v_lshrrev_b32_e32 v94, 16, v112
	v_fma_f16 v147, v86, v109, -v92
	v_fmac_f16_e32 v84, v97, v109
	v_sub_f16_e64 v109, v140, v143
	s_wait_dscnt 0x3
	v_mul_f16_e32 v92, v98, v93
	v_mul_f16_e32 v86, v85, v93
	s_wait_dscnt 0x2
	v_mul_f16_e32 v93, v99, v94
	s_wait_loadcnt 0x1
	v_lshrrev_b32_e32 v97, 16, v113
	v_fma_f16 v148, v85, v104, -v92
	v_mul_f16_e32 v85, v88, v94
	v_fma_f16 v149, v88, v112, -v93
	v_fmac_f16_e32 v86, v98, v104
	s_wait_dscnt 0x1
	v_mul_f16_e64 v92, v138, v97
	s_wait_loadcnt 0x0
	v_lshrrev_b32_e32 v93, 16, v133
	v_mul_f16_e32 v88, v87, v97
	v_fmac_f16_e32 v85, v99, v112
	v_fma_f16 v112, v140, 2.0, -v109
	v_fma_f16 v150, v87, v113, -v92
	s_wait_dscnt 0x0
	v_mul_f16_e64 v92, v144, v93
	v_mul_f16_e32 v87, v91, v93
	v_lshlrev_b32_e32 v93, 1, v96
	v_fmac_f16_e64 v88, v138, v113
	v_sub_f16_e64 v113, v89, v141
	v_fma_f16 v138, v91, v133, -v92
	v_fmac_f16_e64 v87, v144, v133
	v_add3_u32 v101, 0, v39, v93
	v_fma_f16 v39, v90, 2.0, -v110
	ds_load_u16 v99, v52
	ds_load_u16 v98, v18
	;; [unrolled: 1-line block ×14, first 2 shown]
	global_wb scope:SCOPE_SE
	s_wait_dscnt 0x0
	s_barrier_signal -1
	s_barrier_wait -1
	global_inv scope:SCOPE_SE
	ds_store_b16 v101, v39
	ds_store_b16 v101, v110 offset:120
	v_add3_u32 v110, 0, v63, v105
	v_fma_f16 v39, v89, 2.0, -v113
	v_lshlrev_b32_e32 v63, 1, v67
	v_sub_f16_e64 v67, v82, v142
	v_lshlrev_b32_e32 v89, 1, v111
	v_sub_f16_e64 v105, v78, v135
	ds_store_b16 v110, v39
	ds_store_b16 v110, v113 offset:120
	v_add3_u32 v113, 0, v62, v63
	v_fma_f16 v39, v82, 2.0, -v67
	v_lshlrev_b32_e32 v62, 1, v114
	v_sub_f16_e64 v63, v73, v134
	v_add3_u32 v111, 0, v61, v89
	v_fma_f16 v61, v78, 2.0, -v105
	ds_store_b16 v113, v39
	ds_store_b16 v113, v67 offset:120
	ds_store_b16 v111, v61
	ds_store_b16 v111, v105 offset:120
	v_add3_u32 v114, 0, v60, v62
	v_fma_f16 v39, v73, 2.0, -v63
	v_mul_u32_u24_e32 v60, 0xf0, v106
	v_lshlrev_b32_e32 v61, 1, v115
	v_sub_f16_e64 v62, v68, v136
	v_mul_u32_u24_e32 v67, 0xf0, v108
	v_lshlrev_b32_e32 v73, 1, v116
	v_sub_f16_e64 v78, v72, v137
	ds_store_b16 v114, v39
	ds_store_b16 v114, v63 offset:120
	v_add3_u32 v116, 0, v60, v61
	v_fma_f16 v39, v68, 2.0, -v62
	v_add3_u32 v115, 0, v67, v73
	v_fma_f16 v60, v72, 2.0, -v78
	v_mul_u32_u24_e32 v61, 0xf0, v107
	v_lshlrev_b32_e32 v63, 1, v117
	ds_store_b16 v116, v39
	ds_store_b16 v116, v62 offset:120
	ds_store_b16 v115, v60
	ds_store_b16 v115, v78 offset:120
	v_sub_f16_e64 v39, v71, v139
	v_mul_u32_u24_e32 v60, 0xf0, v118
	v_sub_f16_e64 v62, v70, v145
	v_add3_u32 v117, 0, v61, v63
	v_lshlrev_b32_e32 v61, 1, v120
	v_fma_f16 v71, v71, 2.0, -v39
	v_mul_u32_u24_e32 v63, 0xf0, v119
	v_lshlrev_b32_e32 v67, 1, v122
	v_sub_f16_e64 v68, v69, v146
	v_add3_u32 v119, 0, v60, v61
	v_fma_f16 v60, v70, 2.0, -v62
	ds_store_b16 v117, v71
	ds_store_b16 v117, v39 offset:120
	ds_store_b16 v119, v60
	ds_store_b16 v119, v62 offset:120
	v_mul_u32_u24_e32 v39, 0xf0, v121
	v_lshlrev_b32_e32 v60, 1, v126
	v_sub_f16_e64 v62, v65, v147
	v_add3_u32 v118, 0, v63, v67
	v_fma_f16 v61, v69, 2.0, -v68
	v_mul_u32_u24_e32 v63, 0xf0, v123
	v_lshlrev_b32_e32 v67, 1, v129
	v_sub_f16_e64 v69, v66, v148
	v_add3_u32 v121, 0, v39, v60
	v_fma_f16 v39, v65, 2.0, -v62
	ds_store_b16 v118, v61
	ds_store_b16 v118, v68 offset:120
	v_add3_u32 v120, 0, v63, v67
	v_fma_f16 v60, v66, 2.0, -v69
	v_mul_u32_u24_e32 v61, 0xf0, v124
	v_lshlrev_b32_e32 v63, 1, v130
	ds_store_b16 v121, v39
	ds_store_b16 v121, v62 offset:120
	ds_store_b16 v120, v60
	ds_store_b16 v120, v69 offset:120
	v_sub_f16_e64 v39, v3, v149
	v_mul_u32_u24_e32 v60, 0xf0, v127
	v_sub_f16_e64 v62, v2, v150
	v_add3_u32 v122, 0, v61, v63
	v_lshlrev_b32_e32 v61, 1, v131
	v_mul_u32_u24_e32 v63, 0xf0, v128
	v_lshlrev_b32_e32 v65, 1, v132
	v_sub_f16_e64 v66, v64, v138
	v_fma_f16 v3, v3, 2.0, -v39
	v_add3_u32 v123, 0, v60, v61
	v_fma_f16 v2, v2, 2.0, -v62
	v_add3_u32 v124, 0, v63, v65
	v_fma_f16 v60, v64, 2.0, -v66
	ds_store_b16 v122, v3
	ds_store_b16 v122, v39 offset:120
	ds_store_b16 v123, v2
	ds_store_b16 v123, v62 offset:120
	;; [unrolled: 2-line block ×3, first 2 shown]
	v_sub_f16_e32 v3, v104, v125
	v_sub_f16_e32 v75, v103, v75
	;; [unrolled: 1-line block ×3, first 2 shown]
	global_wb scope:SCOPE_SE
	s_wait_dscnt 0x0
	s_barrier_signal -1
	v_fma_f16 v104, v104, 2.0, -v3
	s_barrier_wait -1
	global_inv scope:SCOPE_SE
	ds_load_u16 v67, v52
	ds_load_u16 v73, v49
	ds_load_u16 v108, v49 offset:3840
	ds_load_u16 v107, v49 offset:4096
	;; [unrolled: 1-line block ×7, first 2 shown]
	ds_load_u16 v68, v18
	ds_load_u16 v64, v19
	;; [unrolled: 1-line block ×13, first 2 shown]
	ds_load_u16 v133, v49 offset:5632
	ds_load_u16 v132, v49 offset:5888
	;; [unrolled: 1-line block ×8, first 2 shown]
	global_wb scope:SCOPE_SE
	s_wait_dscnt 0x0
	s_barrier_signal -1
	s_barrier_wait -1
	global_inv scope:SCOPE_SE
	ds_store_b16 v101, v112
	ds_store_b16 v101, v109 offset:120
	v_fma_f16 v101, v103, 2.0, -v75
	ds_store_b16 v110, v104
	ds_store_b16 v110, v3 offset:120
	v_sub_f16_e32 v3, v100, v76
	v_fma_f16 v76, v102, 2.0, -v74
	ds_store_b16 v113, v101
	ds_store_b16 v113, v75 offset:120
	v_sub_f16_e32 v75, v99, v77
	;; [unrolled: 4-line block ×3, first 2 shown]
	ds_store_b16 v114, v77
	ds_store_b16 v114, v3 offset:120
	v_fma_f16 v76, v99, 2.0, -v75
	v_sub_f16_e32 v3, v97, v80
	v_fma_f16 v77, v98, 2.0, -v74
	ds_store_b16 v116, v76
	ds_store_b16 v116, v75 offset:120
	v_sub_f16_e32 v75, v96, v81
	v_fma_f16 v76, v97, 2.0, -v3
	ds_store_b16 v115, v77
	ds_store_b16 v115, v74 offset:120
	v_sub_f16_e32 v74, v95, v83
	ds_store_b16 v117, v76
	ds_store_b16 v117, v3 offset:120
	v_fma_f16 v77, v96, 2.0, -v75
	v_sub_f16_e32 v3, v94, v84
	v_fma_f16 v76, v95, 2.0, -v74
	v_sub_f16_e32 v79, v93, v86
	v_add_nc_u32_e32 v2, 0xffffff88, v0
	ds_store_b16 v119, v77
	ds_store_b16 v119, v75 offset:120
	v_fma_f16 v75, v94, 2.0, -v3
	ds_store_b16 v118, v76
	ds_store_b16 v118, v74 offset:120
	v_sub_f16_e32 v74, v92, v85
	v_fma_f16 v76, v93, 2.0, -v79
	s_wait_alu 0xf1ff
	v_cndmask_b32_e64 v2, v2, v0, s0
	ds_store_b16 v121, v75
	ds_store_b16 v121, v3 offset:120
	v_sub_f16_e32 v77, v90, v88
	v_fma_f16 v75, v92, 2.0, -v74
	v_mov_b32_e32 v3, 0
	v_lshrrev_b32_e32 v96, 22, v12
	v_lshrrev_b32_e32 v99, 22, v14
	;; [unrolled: 1-line block ×4, first 2 shown]
	ds_store_b16 v120, v76
	ds_store_b16 v120, v79 offset:120
	v_sub_f16_e32 v76, v91, v87
	v_lshlrev_b32_e32 v134, 1, v2
	v_fma_f16 v79, v90, 2.0, -v77
	ds_store_b16 v122, v75
	ds_store_b16 v122, v74 offset:120
	v_lshlrev_b64_e32 v[74:75], 2, v[2:3]
	v_lshrrev_b16 v2, 14, v5
	v_mul_lo_u16 v98, 0x78, v96
	v_mul_lo_u16 v102, 0x78, v99
	;; [unrolled: 1-line block ×4, first 2 shown]
	v_fma_f16 v80, v91, 2.0, -v76
	v_cmp_lt_u32_e64 s0, 0x77, v0
	ds_store_b16 v123, v79
	ds_store_b16 v123, v77 offset:120
	ds_store_b16 v124, v80
	ds_store_b16 v124, v76 offset:120
	v_mul_lo_u16 v5, 0x78, v2
	v_mul_lo_u16 v76, 0x78, v9
	v_lshrrev_b32_e32 v77, 22, v4
	v_sub_nc_u16 v98, v32, v98
	v_sub_nc_u16 v102, v33, v102
	;; [unrolled: 1-line block ×4, first 2 shown]
	s_wait_alu 0xf1ff
	v_cndmask_b32_e64 v125, 0, 0x1e0, s0
	v_add_co_u32 v74, s0, s8, v74
	s_wait_alu 0xf1ff
	v_add_co_ci_u32_e64 v75, s0, s9, v75, s0
	v_sub_nc_u16 v5, v26, v5
	v_sub_nc_u16 v76, v28, v76
	v_mul_lo_u16 v79, 0x78, v77
	v_lshrrev_b32_e32 v80, 22, v7
	v_and_b32_e32 v98, 0xffff, v98
	v_and_b32_e32 v102, 0xffff, v102
	;; [unrolled: 1-line block ×4, first 2 shown]
	global_wb scope:SCOPE_SE
	s_wait_dscnt 0x0
	s_barrier_signal -1
	s_barrier_wait -1
	global_inv scope:SCOPE_SE
	v_and_b32_e32 v5, 0xff, v5
	v_and_b32_e32 v76, 0xffff, v76
	v_sub_nc_u16 v79, v47, v79
	global_load_b32 v74, v[74:75], off offset:440
	v_mul_lo_u16 v84, 0x78, v80
	v_lshlrev_b32_e32 v110, 2, v98
	v_lshlrev_b32_e32 v115, 2, v102
	;; [unrolled: 1-line block ×4, first 2 shown]
	v_lshrrev_b32_e32 v81, 22, v6
	v_and_b32_e32 v79, 0xffff, v79
	v_lshlrev_b32_e32 v83, 2, v76
	v_lshrrev_b32_e32 v86, 22, v8
	global_load_b32 v119, v119, s[8:9] offset:440
	v_lshlrev_b32_e32 v75, 2, v5
	v_sub_nc_u16 v84, v45, v84
	s_clause 0x2
	global_load_b32 v110, v110, s[8:9] offset:440
	global_load_b32 v115, v115, s[8:9] offset:440
	global_load_b32 v118, v118, s[8:9] offset:440
	v_mul_lo_u16 v85, 0x78, v81
	v_lshlrev_b32_e32 v87, 2, v79
	s_clause 0x1
	global_load_b32 v75, v75, s[8:9] offset:440
	global_load_b32 v83, v83, s[8:9] offset:440
	v_mul_lo_u16 v88, 0x78, v86
	v_and_b32_e32 v84, 0xffff, v84
	global_load_b32 v87, v87, s[8:9] offset:440
	v_sub_nc_u16 v85, v41, v85
	v_lshrrev_b32_e32 v90, 22, v10
	v_sub_nc_u16 v88, v43, v88
	v_lshlrev_b32_e32 v92, 2, v84
	v_lshrrev_b32_e32 v93, 22, v11
	v_and_b32_e32 v85, 0xffff, v85
	v_mul_lo_u16 v91, 0x78, v90
	v_and_b32_e32 v88, 0xffff, v88
	global_load_b32 v92, v92, s[8:9] offset:440
	v_mul_lo_u16 v95, 0x78, v93
	v_lshlrev_b32_e32 v94, 2, v85
	v_sub_nc_u16 v91, v30, v91
	v_lshlrev_b32_e32 v97, 2, v88
	v_lshrrev_b32_e32 v113, 22, v17
	v_sub_nc_u16 v95, v31, v95
	global_load_b32 v94, v94, s[8:9] offset:440
	v_and_b32_e32 v91, 0xffff, v91
	global_load_b32 v97, v97, s[8:9] offset:440
	v_lshrrev_b32_e32 v114, 22, v16
	v_and_b32_e32 v95, 0xffff, v95
	v_mul_lo_u16 v116, 0x78, v113
	v_lshlrev_b32_e32 v100, 2, v91
	v_add3_u32 v112, 0, v125, v134
	v_mul_lo_u16 v117, 0x78, v114
	v_lshlrev_b32_e32 v103, 2, v95
	v_sub_nc_u16 v116, v38, v116
	global_load_b32 v100, v100, s[8:9] offset:440
	v_and_b32_e32 v2, 0xffff, v2
	v_sub_nc_u16 v117, v40, v117
	global_load_b32 v103, v103, s[8:9] offset:440
	v_and_b32_e32 v116, 0xffff, v116
	v_lshlrev_b32_e32 v5, 1, v5
	v_mul_u32_u24_e32 v2, 0x1e0, v2
	v_and_b32_e32 v117, 0xffff, v117
	v_mul_u32_u24_e32 v9, 0x1e0, v9
	v_lshlrev_b32_e32 v120, 2, v116
	v_cmp_gt_u32_e64 s0, 0xf0, v26
	v_add3_u32 v2, 0, v2, v5
	v_lshlrev_b32_e32 v121, 2, v117
	s_clause 0x1
	global_load_b32 v120, v120, s[8:9] offset:440
	global_load_b32 v121, v121, s[8:9] offset:440
	ds_load_u16 v122, v49 offset:3840
	ds_load_u16 v123, v49 offset:4096
	ds_load_u16 v124, v49 offset:4352
	ds_load_u16 v134, v49 offset:4608
	ds_load_u16 v135, v49 offset:4864
	ds_load_u16 v136, v49 offset:5120
	ds_load_u16 v137, v49 offset:5376
	ds_load_u16 v138, v49
	v_lshrrev_b32_e32 v7, 23, v7
	v_lshrrev_b32_e32 v6, 23, v6
	s_delay_alu instid0(VALU_DEP_2) | instskip(NEXT) | instid1(VALU_DEP_1)
	v_mul_lo_u16 v7, 0xf0, v7
	v_sub_nc_u16 v7, v45, v7
	s_delay_alu instid0(VALU_DEP_1) | instskip(SKIP_3) | instid1(VALU_DEP_1)
	v_and_b32_e32 v7, 0xffff, v7
	s_wait_loadcnt 0xe
	v_lshrrev_b32_e32 v125, 16, v74
	s_wait_dscnt 0x7
	v_mul_f16_e64 v139, v122, v125
	v_mul_f16_e32 v125, v108, v125
	s_delay_alu instid0(VALU_DEP_2) | instskip(NEXT) | instid1(VALU_DEP_2)
	v_fma_f16 v108, v108, v74, -v139
	v_fmac_f16_e32 v125, v122, v74
	s_delay_alu instid0(VALU_DEP_2) | instskip(SKIP_1) | instid1(VALU_DEP_2)
	v_sub_f16_e32 v108, v73, v108
	s_wait_dscnt 0x0
	v_sub_f16_e64 v125, v138, v125
	s_wait_loadcnt 0x9
	v_lshrrev_b32_e32 v140, 16, v75
	s_wait_loadcnt 0x8
	v_lshrrev_b32_e32 v139, 16, v83
	v_fma_f16 v73, v73, 2.0, -v108
	v_fma_f16 v138, v138, 2.0, -v125
	s_wait_loadcnt 0x7
	v_lshrrev_b32_e32 v74, 16, v87
	v_mul_f16_e64 v141, v123, v140
	v_mul_f16_e64 v140, v107, v140
	;; [unrolled: 1-line block ×3, first 2 shown]
	s_delay_alu instid0(VALU_DEP_3) | instskip(NEXT) | instid1(VALU_DEP_3)
	v_fma_f16 v107, v107, v75, -v141
	v_fmac_f16_e64 v140, v123, v75
	v_mul_f16_e64 v123, v106, v139
	v_mul_f16_e64 v75, v134, v74
	v_fma_f16 v106, v106, v83, -v122
	v_mul_f16_e32 v122, v105, v74
	s_wait_loadcnt 0x6
	v_lshrrev_b32_e32 v74, 16, v92
	ds_load_u16 v139, v49 offset:5888
	v_fma_f16 v75, v105, v87, -v75
	v_fmac_f16_e32 v123, v124, v83
	v_fmac_f16_e64 v122, v134, v87
	v_mul_f16_e64 v87, v135, v74
	v_mul_f16_e32 v105, v89, v74
	ds_load_u16 v74, v49 offset:5632
	s_wait_loadcnt 0x5
	v_lshrrev_b32_e32 v83, 16, v94
	s_wait_loadcnt 0x4
	v_lshrrev_b32_e32 v134, 16, v97
	v_fma_f16 v87, v89, v92, -v87
	v_fmac_f16_e64 v105, v135, v92
	ds_load_u16 v92, v49 offset:6144
	v_mul_f16_e64 v124, v136, v83
	v_mul_f16_e32 v89, v82, v83
	v_mul_f16_e64 v83, v137, v134
	v_sub_f16_e32 v107, v72, v107
	v_sub_f16_e32 v75, v70, v75
	v_fma_f16 v82, v82, v94, -v124
	v_fmac_f16_e64 v89, v136, v94
	v_mul_f16_e64 v94, v78, v134
	ds_load_u16 v134, v49 offset:6400
	ds_load_u16 v135, v49 offset:6656
	;; [unrolled: 1-line block ×5, first 2 shown]
	v_fma_f16 v78, v78, v97, -v83
	s_wait_loadcnt 0x3
	v_lshrrev_b32_e32 v83, 16, v100
	s_wait_loadcnt 0x2
	v_lshrrev_b32_e32 v124, 16, v103
	v_fmac_f16_e64 v94, v137, v97
	v_lshrrev_b32_e32 v137, 16, v110
	v_fma_f16 v5, v72, 2.0, -v107
	s_wait_dscnt 0x6
	v_mul_f16_e64 v143, v74, v83
	v_mul_f16_e64 v97, v133, v83
	v_mul_f16_e64 v83, v139, v124
	v_mul_f16_e64 v124, v132, v124
	v_lshlrev_b32_e32 v72, 1, v76
	v_fma_f16 v133, v133, v100, -v143
	v_fmac_f16_e32 v97, v74, v100
	v_fma_f16 v74, v132, v103, -v83
	s_wait_dscnt 0x5
	v_mul_f16_e64 v83, v92, v137
	v_lshrrev_b32_e32 v100, 16, v115
	v_fmac_f16_e64 v124, v139, v103
	v_mul_f16_e64 v103, v131, v137
	v_lshrrev_b32_e32 v132, 16, v118
	v_fma_f16 v83, v131, v110, -v83
	s_wait_dscnt 0x4
	v_mul_f16_e64 v131, v134, v100
	v_mul_f16_e64 v100, v130, v100
	v_fmac_f16_e32 v103, v92, v110
	s_wait_dscnt 0x3
	v_mul_f16_e64 v92, v135, v132
	v_lshrrev_b32_e32 v110, 16, v119
	v_fma_f16 v130, v130, v115, -v131
	v_fmac_f16_e64 v100, v134, v115
	v_mul_f16_e64 v115, v129, v132
	v_fma_f16 v92, v129, v118, -v92
	s_wait_dscnt 0x2
	v_mul_f16_e64 v129, v136, v110
	v_mul_f16_e64 v110, v128, v110
	s_wait_loadcnt 0x1
	v_lshrrev_b32_e32 v131, 16, v120
	v_fmac_f16_e64 v115, v135, v118
	s_wait_loadcnt 0x0
	v_lshrrev_b32_e32 v118, 16, v121
	v_fma_f16 v128, v128, v119, -v129
	v_fmac_f16_e64 v110, v136, v119
	s_wait_dscnt 0x1
	v_mul_f16_e64 v119, v141, v131
	v_mul_f16_e64 v129, v127, v131
	s_wait_dscnt 0x0
	v_mul_f16_e64 v131, v142, v118
	v_mul_f16_e32 v118, v126, v118
	v_mul_u32_u24_e32 v76, 0x1e0, v77
	v_fma_f16 v119, v127, v120, -v119
	v_fmac_f16_e64 v129, v141, v120
	v_fma_f16 v120, v126, v121, -v131
	v_fmac_f16_e64 v118, v142, v121
	ds_load_u16 v121, v52
	ds_load_u16 v126, v18
	;; [unrolled: 1-line block ×14, first 2 shown]
	global_wb scope:SCOPE_SE
	s_wait_dscnt 0x0
	s_barrier_signal -1
	s_barrier_wait -1
	global_inv scope:SCOPE_SE
	ds_store_b16 v112, v73
	ds_store_b16 v112, v108 offset:240
	v_sub_f16_e32 v73, v71, v106
	v_lshlrev_b32_e32 v77, 1, v79
	ds_store_b16 v2, v5
	ds_store_b16 v2, v107 offset:240
	v_add3_u32 v5, 0, v9, v72
	v_lshlrev_b32_e32 v72, 1, v84
	v_fma_f16 v9, v71, 2.0, -v73
	v_add3_u32 v106, 0, v76, v77
	v_mul_u32_u24_e32 v71, 0x1e0, v80
	v_sub_f16_e32 v76, v69, v87
	v_fma_f16 v70, v70, 2.0, -v75
	ds_store_b16 v5, v9
	ds_store_b16 v5, v73 offset:240
	ds_store_b16 v106, v70
	ds_store_b16 v106, v75 offset:240
	v_add3_u32 v107, 0, v71, v72
	v_fma_f16 v9, v69, 2.0, -v76
	v_mul_u32_u24_e32 v69, 0x1e0, v81
	v_lshlrev_b32_e32 v70, 1, v85
	v_sub_f16_e32 v71, v67, v82
	v_mul_u32_u24_e32 v72, 0x1e0, v86
	v_lshlrev_b32_e32 v73, 1, v88
	v_sub_f16_e32 v75, v68, v78
	ds_store_b16 v107, v9
	ds_store_b16 v107, v76 offset:240
	v_add3_u32 v88, 0, v69, v70
	v_fma_f16 v9, v67, 2.0, -v71
	v_add3_u32 v108, 0, v72, v73
	v_fma_f16 v67, v68, 2.0, -v75
	v_mul_u32_u24_e32 v68, 0x1e0, v90
	v_lshlrev_b32_e32 v69, 1, v91
	ds_store_b16 v88, v9
	ds_store_b16 v88, v71 offset:240
	ds_store_b16 v108, v67
	ds_store_b16 v108, v75 offset:240
	v_sub_f16_e64 v9, v64, v133
	v_mul_u32_u24_e32 v67, 0x1e0, v93
	v_mul_u32_u24_e32 v70, 0x1e0, v96
	v_add3_u32 v90, 0, v68, v69
	v_lshlrev_b32_e32 v68, 1, v95
	v_sub_f16_e32 v69, v65, v74
	v_fma_f16 v64, v64, 2.0, -v9
	v_lshlrev_b32_e32 v71, 1, v98
	v_sub_f16_e32 v72, v66, v83
	v_add3_u32 v91, 0, v67, v68
	v_fma_f16 v65, v65, 2.0, -v69
	ds_store_b16 v90, v64
	ds_store_b16 v90, v9 offset:240
	ds_store_b16 v91, v65
	ds_store_b16 v91, v69 offset:240
	v_mul_u32_u24_e32 v9, 0x1e0, v99
	v_lshlrev_b32_e32 v64, 1, v102
	v_sub_f16_e64 v65, v62, v130
	v_mul_u32_u24_e32 v67, 0x1e0, v101
	v_lshlrev_b32_e32 v68, 1, v104
	v_sub_f16_e32 v69, v63, v92
	v_add3_u32 v93, 0, v70, v71
	v_fma_f16 v66, v66, 2.0, -v72
	v_add3_u32 v92, 0, v9, v64
	v_fma_f16 v9, v62, 2.0, -v65
	v_add3_u32 v95, 0, v67, v68
	v_fma_f16 v62, v63, 2.0, -v69
	v_mul_u32_u24_e32 v63, 0x1e0, v109
	v_lshlrev_b32_e32 v64, 1, v111
	ds_store_b16 v93, v66
	ds_store_b16 v93, v72 offset:240
	ds_store_b16 v92, v9
	ds_store_b16 v92, v65 offset:240
	;; [unrolled: 2-line block ×3, first 2 shown]
	v_sub_f16_e64 v9, v39, v128
	v_sub_f16_e64 v101, v143, v140
	v_add3_u32 v96, 0, v63, v64
	v_mul_u32_u24_e32 v62, 0x1e0, v113
	v_lshlrev_b32_e32 v63, 1, v116
	v_sub_f16_e32 v64, v60, v119
	v_mul_u32_u24_e32 v65, 0x1e0, v114
	v_lshlrev_b32_e32 v66, 1, v117
	v_sub_f16_e32 v67, v61, v120
	v_fma_f16 v39, v39, 2.0, -v9
	v_sub_f16_e64 v102, v142, v123
	v_fma_f16 v104, v143, 2.0, -v101
	v_add3_u32 v98, 0, v62, v63
	v_fma_f16 v60, v60, 2.0, -v64
	v_add3_u32 v99, 0, v65, v66
	v_fma_f16 v61, v61, 2.0, -v67
	ds_store_b16 v96, v39
	ds_store_b16 v96, v9 offset:240
	ds_store_b16 v98, v60
	ds_store_b16 v98, v64 offset:240
	;; [unrolled: 2-line block ×3, first 2 shown]
	global_wb scope:SCOPE_SE
	s_wait_dscnt 0x0
	s_barrier_signal -1
	s_barrier_wait -1
	global_inv scope:SCOPE_SE
	ds_load_u16 v66, v52
	ds_load_u16 v72, v49
	ds_load_u16 v87, v49 offset:3840
	ds_load_u16 v86, v49 offset:4096
	ds_load_u16 v85, v49 offset:4352
	ds_load_u16 v84, v49 offset:4608
	ds_load_u16 v82, v49 offset:4864
	ds_load_u16 v79, v49 offset:5120
	ds_load_u16 v78, v49 offset:5376
	ds_load_u16 v67, v18
	ds_load_u16 v64, v19
	;; [unrolled: 1-line block ×13, first 2 shown]
	ds_load_u16 v83, v49 offset:5632
	ds_load_u16 v81, v49 offset:5888
	;; [unrolled: 1-line block ×8, first 2 shown]
	global_wb scope:SCOPE_SE
	s_wait_dscnt 0x0
	s_barrier_signal -1
	s_barrier_wait -1
	global_inv scope:SCOPE_SE
	ds_store_b16 v112, v138
	ds_store_b16 v112, v125 offset:240
	v_sub_f16_e64 v109, v135, v122
	v_fma_f16 v111, v142, 2.0, -v102
	ds_store_b16 v2, v104
	ds_store_b16 v2, v101 offset:240
	v_sub_f16_e64 v2, v134, v105
	ds_store_b16 v5, v111
	ds_store_b16 v5, v102 offset:240
	v_fma_f16 v101, v135, 2.0, -v109
	v_sub_f16_e32 v5, v121, v89
	v_fma_f16 v89, v134, 2.0, -v2
	v_sub_f16_e32 v94, v126, v94
	ds_store_b16 v106, v101
	ds_store_b16 v106, v109 offset:240
	v_fma_f16 v101, v121, 2.0, -v5
	ds_store_b16 v107, v89
	ds_store_b16 v107, v2 offset:240
	v_sub_f16_e32 v2, v127, v97
	v_fma_f16 v89, v126, 2.0, -v94
	ds_store_b16 v88, v101
	ds_store_b16 v88, v5 offset:240
	v_sub_f16_e64 v5, v131, v124
	v_fma_f16 v88, v127, 2.0, -v2
	ds_store_b16 v108, v89
	ds_store_b16 v108, v94 offset:240
	v_sub_f16_e64 v89, v132, v103
	v_sub_f16_e64 v97, v136, v100
	v_fma_f16 v94, v131, 2.0, -v5
	ds_store_b16 v90, v88
	ds_store_b16 v90, v2 offset:240
	v_sub_f16_e64 v88, v137, v115
	v_fma_f16 v2, v132, 2.0, -v89
	v_fma_f16 v90, v136, 2.0, -v97
	ds_store_b16 v91, v94
	ds_store_b16 v91, v5 offset:240
	ds_store_b16 v93, v2
	ds_store_b16 v93, v89 offset:240
	v_sub_f16_e64 v2, v139, v110
	v_fma_f16 v5, v137, 2.0, -v88
	v_sub_f16_e64 v91, v141, v129
	ds_store_b16 v92, v90
	ds_store_b16 v92, v97 offset:240
	ds_store_b16 v95, v5
	ds_store_b16 v95, v88 offset:240
	v_fma_f16 v89, v139, 2.0, -v2
	v_sub_f16_e64 v5, v144, v118
	v_add_nc_u32_e32 v90, 0xffffff90, v0
	v_fma_f16 v88, v141, 2.0, -v91
	ds_store_b16 v96, v89
	ds_store_b16 v96, v2 offset:240
	v_fma_f16 v92, v144, 2.0, -v5
	s_wait_alu 0xf1ff
	v_cndmask_b32_e64 v2, v90, v26, s0
	v_lshlrev_b64_e32 v[89:90], 2, v[0:1]
	ds_store_b16 v98, v88
	ds_store_b16 v98, v91 offset:240
	ds_store_b16 v99, v92
	ds_store_b16 v99, v5 offset:240
	v_lshrrev_b32_e32 v88, 23, v4
	global_wb scope:SCOPE_SE
	s_wait_dscnt 0x0
	v_lshlrev_b64_e32 v[91:92], 2, v[2:3]
	s_barrier_signal -1
	v_add_co_u32 v4, s0, s8, v89
	v_mul_lo_u16 v1, 0xf0, v88
	s_wait_alu 0xf1ff
	v_add_co_ci_u32_e64 v5, s0, s9, v90, s0
	v_add_co_u32 v90, s0, s8, v91
	s_delay_alu instid0(VALU_DEP_3)
	v_sub_nc_u16 v1, v47, v1
	s_wait_alu 0xf1ff
	v_add_co_ci_u32_e64 v91, s0, s9, v92, s0
	s_barrier_wait -1
	global_inv scope:SCOPE_SE
	global_load_b32 v93, v[4:5], off offset:920
	v_and_b32_e32 v89, 0xffff, v1
	global_load_b32 v1, v[90:91], off offset:920
	v_lshrrev_b32_e32 v90, 23, v8
	v_lshrrev_b32_e32 v8, 23, v10
	;; [unrolled: 1-line block ×3, first 2 shown]
	v_mul_lo_u16 v91, 0xf0, v6
	v_lshlrev_b32_e32 v92, 2, v89
	v_mul_lo_u16 v90, 0xf0, v90
	v_mul_lo_u16 v97, 0xf0, v8
	v_mul_lo_u16 v107, 0xf0, v104
	v_sub_nc_u16 v91, v41, v91
	v_lshlrev_b32_e32 v95, 2, v7
	v_sub_nc_u16 v98, v43, v90
	v_lshrrev_b32_e32 v90, 23, v12
	v_sub_nc_u16 v97, v30, v97
	v_sub_nc_u16 v107, v34, v107
	s_clause 0x1
	global_load_b32 v96, v92, s[8:9] offset:920
	global_load_b32 v95, v95, s[8:9] offset:920
	v_mul_lo_u16 v100, 0xf0, v90
	v_and_b32_e32 v97, 0xffff, v97
	v_and_b32_e32 v107, 0xffff, v107
	global_load_b32 v94, v[4:5], off offset:984
	v_lshrrev_b32_e32 v99, 23, v11
	v_sub_nc_u16 v100, v32, v100
	v_lshlrev_b32_e32 v103, 2, v97
	v_lshlrev_b32_e32 v113, 2, v107
	v_lshrrev_b32_e32 v102, 23, v14
	v_lshrrev_b32_e32 v106, 23, v13
	v_and_b32_e32 v100, 0xffff, v100
	s_clause 0x1
	global_load_b32 v103, v103, s[8:9] offset:920
	global_load_b32 v113, v113, s[8:9] offset:920
	v_mul_lo_u16 v102, 0xf0, v102
	v_mul_lo_u16 v106, 0xf0, v106
	v_lshlrev_b32_e32 v108, 2, v100
	v_lshrrev_b32_e32 v109, 23, v17
	v_lshrrev_b32_e32 v110, 23, v16
	v_sub_nc_u16 v102, v33, v102
	v_sub_nc_u16 v106, v36, v106
	global_load_b32 v108, v108, s[8:9] offset:920
	v_and_b32_e32 v92, 0xffff, v91
	v_and_b32_e32 v91, 0xffff, v98
	v_mul_lo_u16 v98, 0xf0, v99
	v_and_b32_e32 v102, 0xffff, v102
	v_mul_lo_u16 v111, 0xf0, v109
	v_lshlrev_b32_e32 v99, 2, v92
	v_lshlrev_b32_e32 v101, 2, v91
	v_sub_nc_u16 v98, v31, v98
	v_mul_lo_u16 v110, 0xf0, v110
	v_lshlrev_b32_e32 v112, 2, v102
	s_clause 0x1
	global_load_b32 v99, v99, s[8:9] offset:920
	global_load_b32 v101, v101, s[8:9] offset:920
	v_and_b32_e32 v98, 0xffff, v98
	v_and_b32_e32 v106, 0xffff, v106
	v_sub_nc_u16 v111, v38, v111
	v_sub_nc_u16 v110, v40, v110
	global_load_b32 v112, v112, s[8:9] offset:920
	v_lshlrev_b32_e32 v105, 2, v98
	v_lshlrev_b32_e32 v114, 2, v106
	v_and_b32_e32 v111, 0xffff, v111
	v_and_b32_e32 v110, 0xffff, v110
	v_cmp_lt_u32_e64 s0, 0xef, v26
	s_clause 0x1
	global_load_b32 v105, v105, s[8:9] offset:920
	global_load_b32 v114, v114, s[8:9] offset:920
	v_lshlrev_b32_e32 v115, 2, v111
	v_lshlrev_b32_e32 v116, 2, v110
	s_clause 0x1
	global_load_b32 v115, v115, s[8:9] offset:920
	global_load_b32 v116, v116, s[8:9] offset:920
	ds_load_u16 v117, v49 offset:3840
	ds_load_u16 v118, v49 offset:4096
	;; [unrolled: 1-line block ×7, first 2 shown]
	ds_load_u16 v125, v49
	v_lshlrev_b32_e32 v2, 1, v2
	v_mul_u32_u24_e32 v6, 0x3c0, v6
	v_lshl_add_u32 v7, v7, 1, 0
	v_mul_u32_u24_e32 v8, 0x3c0, v8
	v_lshl_add_u32 v91, v91, 1, 0
	v_lshrrev_b32_e32 v10, 24, v10
	v_lshrrev_b32_e32 v11, 24, v11
	;; [unrolled: 1-line block ×6, first 2 shown]
	v_mul_lo_u16 v11, 0x1e0, v11
	v_mul_lo_u16 v12, 0x1e0, v12
	;; [unrolled: 1-line block ×3, first 2 shown]
	v_lshrrev_b32_e32 v17, 24, v17
	v_lshrrev_b32_e32 v16, 24, v16
	v_sub_nc_u16 v11, v31, v11
	v_sub_nc_u16 v12, v32, v12
	;; [unrolled: 1-line block ×3, first 2 shown]
	v_mul_lo_u16 v13, 0x1e0, v13
	v_mul_lo_u16 v17, 0x1e0, v17
	v_and_b32_e32 v11, 0xffff, v11
	v_and_b32_e32 v12, 0xffff, v12
	;; [unrolled: 1-line block ×3, first 2 shown]
	v_mul_lo_u16 v16, 0x1e0, v16
	v_sub_nc_u16 v13, v36, v13
	v_sub_nc_u16 v17, v38, v17
	s_delay_alu instid0(VALU_DEP_3) | instskip(NEXT) | instid1(VALU_DEP_3)
	v_sub_nc_u16 v16, v40, v16
	v_and_b32_e32 v13, 0xffff, v13
	s_delay_alu instid0(VALU_DEP_3) | instskip(NEXT) | instid1(VALU_DEP_3)
	v_and_b32_e32 v17, 0xffff, v17
	v_and_b32_e32 v16, 0xffff, v16
	s_wait_loadcnt 0xe
	v_lshrrev_b32_e32 v120, 16, v93
	s_wait_loadcnt 0xd
	v_lshrrev_b32_e32 v127, 16, v1
	s_wait_dscnt 0x7
	s_delay_alu instid0(VALU_DEP_2) | instskip(SKIP_1) | instid1(VALU_DEP_2)
	v_mul_f16_e32 v126, v117, v120
	v_mul_f16_e32 v120, v87, v120
	v_fma_f16 v87, v87, v93, -v126
	s_wait_dscnt 0x6
	v_mul_f16_e32 v126, v118, v127
	v_mul_f16_e32 v127, v86, v127
	v_fmac_f16_e32 v120, v117, v93
	v_sub_f16_e32 v87, v72, v87
	s_delay_alu instid0(VALU_DEP_4)
	v_fma_f16 v86, v86, v1, -v126
	s_wait_loadcnt 0xc
	v_lshrrev_b32_e32 v93, 16, v96
	v_fmac_f16_e32 v127, v118, v1
	s_wait_loadcnt 0xb
	v_lshrrev_b32_e32 v126, 16, v95
	s_wait_dscnt 0x0
	v_sub_f16_e32 v120, v125, v120
	v_sub_f16_e32 v86, v71, v86
	s_wait_loadcnt 0xa
	v_lshrrev_b32_e32 v128, 16, v94
	v_mul_f16_e32 v1, v121, v93
	v_mul_f16_e32 v93, v84, v93
	v_fma_f16 v125, v125, 2.0, -v120
	v_fma_f16 v71, v71, 2.0, -v86
	v_mul_f16_e64 v117, v119, v128
	v_mul_f16_e64 v118, v85, v128
	v_fma_f16 v84, v84, v96, -v1
	v_mul_f16_e32 v1, v122, v126
	v_fmac_f16_e32 v93, v121, v96
	v_fma_f16 v85, v85, v94, -v117
	v_fmac_f16_e32 v118, v119, v94
	v_mul_f16_e32 v94, v82, v126
	ds_load_u16 v117, v49 offset:5632
	ds_load_u16 v119, v49 offset:5888
	v_fma_f16 v82, v82, v95, -v1
	v_sub_f16_e32 v85, v70, v85
	v_fmac_f16_e32 v94, v122, v95
	s_delay_alu instid0(VALU_DEP_2) | instskip(SKIP_4) | instid1(VALU_DEP_2)
	v_fma_f16 v70, v70, 2.0, -v85
	s_wait_loadcnt 0x6
	v_lshrrev_b32_e32 v96, 16, v99
	s_wait_loadcnt 0x5
	v_lshrrev_b32_e32 v1, 16, v101
	v_mul_f16_e32 v95, v123, v96
	s_delay_alu instid0(VALU_DEP_2)
	v_mul_f16_e32 v121, v124, v1
	v_mul_f16_e32 v122, v78, v1
	ds_load_u16 v1, v49 offset:6144
	v_mul_f16_e32 v96, v79, v96
	v_fma_f16 v79, v79, v99, -v95
	v_fma_f16 v78, v78, v101, -v121
	v_lshrrev_b32_e32 v95, 16, v103
	v_fmac_f16_e32 v122, v124, v101
	v_fmac_f16_e32 v96, v123, v99
	ds_load_u16 v121, v49 offset:6400
	ds_load_u16 v123, v49 offset:6656
	;; [unrolled: 1-line block ×5, first 2 shown]
	s_wait_loadcnt 0x3
	v_lshrrev_b32_e32 v99, 16, v105
	s_wait_dscnt 0x7
	v_mul_f16_e64 v130, v117, v95
	v_mul_f16_e32 v95, v83, v95
	v_lshrrev_b32_e32 v124, 16, v108
	v_sub_f16_e32 v79, v66, v79
	s_wait_dscnt 0x6
	v_mul_f16_e32 v101, v119, v99
	v_mul_f16_e32 v99, v81, v99
	v_fma_f16 v83, v83, v103, -v130
	v_fmac_f16_e32 v95, v117, v103
	v_lshrrev_b32_e32 v103, 16, v112
	v_fma_f16 v81, v81, v105, -v101
	v_fmac_f16_e32 v99, v119, v105
	s_wait_dscnt 0x5
	v_mul_f16_e32 v101, v1, v124
	v_mul_f16_e32 v105, v80, v124
	v_lshrrev_b32_e32 v117, 16, v113
	v_fma_f16 v66, v66, 2.0, -v79
	s_delay_alu instid0(VALU_DEP_4)
	v_fma_f16 v80, v80, v108, -v101
	s_wait_dscnt 0x4
	v_mul_f16_e32 v101, v121, v103
	v_mul_f16_e32 v103, v77, v103
	v_fmac_f16_e32 v105, v1, v108
	s_wait_dscnt 0x3
	v_mul_f16_e32 v1, v123, v117
	s_wait_loadcnt 0x2
	v_lshrrev_b32_e32 v108, 16, v114
	v_fma_f16 v77, v77, v112, -v101
	v_fmac_f16_e32 v103, v121, v112
	v_mul_f16_e32 v101, v76, v117
	v_fma_f16 v76, v76, v113, -v1
	s_wait_dscnt 0x2
	v_mul_f16_e32 v1, v126, v108
	s_wait_loadcnt 0x1
	v_lshrrev_b32_e32 v112, 16, v115
	v_mul_f16_e32 v108, v75, v108
	v_fmac_f16_e32 v101, v123, v113
	s_wait_loadcnt 0x0
	v_lshrrev_b32_e32 v113, 16, v116
	v_fma_f16 v75, v75, v114, -v1
	s_wait_dscnt 0x1
	v_mul_f16_e64 v1, v128, v112
	v_mul_f16_e32 v112, v74, v112
	v_fmac_f16_e32 v108, v126, v114
	s_wait_dscnt 0x0
	v_mul_f16_e64 v114, v129, v113
	v_mul_f16_e32 v113, v73, v113
	v_fma_f16 v74, v74, v115, -v1
	v_fma_f16 v1, v72, 2.0, -v87
	s_wait_alu 0xf1ff
	v_cndmask_b32_e64 v72, 0, 0x3c0, s0
	v_fmac_f16_e64 v112, v128, v115
	v_fma_f16 v73, v73, v116, -v114
	v_fmac_f16_e64 v113, v129, v116
	ds_load_u16 v114, v37
	ds_load_u16 v115, v35
	ds_load_u16 v116, v52
	ds_load_u16 v117, v18
	ds_load_u16 v119, v19
	ds_load_u16 v121, v20
	ds_load_u16 v123, v21
	ds_load_u16 v124, v55
	ds_load_u16 v126, v54
	ds_load_u16 v128, v53
	ds_load_u16 v129, v56
	ds_load_u16 v130, v57
	ds_load_u16 v131, v58
	ds_load_u16 v132, v59
	v_add3_u32 v2, 0, v72, v2
	global_wb scope:SCOPE_SE
	s_wait_dscnt 0x0
	s_barrier_signal -1
	s_barrier_wait -1
	global_inv scope:SCOPE_SE
	ds_store_b16 v49, v1
	ds_store_b16 v49, v87 offset:480
	v_lshl_add_u32 v1, v0, 1, 0
	v_mul_u32_u24_e32 v72, 0x3c0, v88
	v_lshlrev_b32_e32 v87, 1, v89
	ds_store_b16 v2, v71
	ds_store_b16 v2, v86 offset:480
	ds_store_b16 v1, v70 offset:992
	;; [unrolled: 1-line block ×3, first 2 shown]
	v_sub_f16_e32 v70, v69, v84
	v_sub_f16_e32 v71, v68, v82
	v_cmp_gt_u32_e64 s0, 0x1e0, v47
	v_add3_u32 v89, 0, v72, v87
	v_lshlrev_b32_e32 v72, 1, v92
	v_fma_f16 v69, v69, 2.0, -v70
	v_fma_f16 v68, v68, 2.0, -v71
	ds_store_b16 v89, v69
	ds_store_b16 v89, v70 offset:480
	v_sub_f16_e32 v69, v67, v78
	v_add3_u32 v6, 0, v6, v72
	ds_store_b16 v7, v68 offset:1920
	ds_store_b16 v7, v71 offset:2400
	ds_store_b16 v6, v66
	ds_store_b16 v6, v79 offset:480
	v_fma_f16 v66, v67, 2.0, -v69
	v_lshlrev_b32_e32 v67, 1, v97
	v_sub_f16_e32 v68, v64, v83
	v_sub_f16_e32 v70, v65, v81
	v_lshl_add_u32 v92, v98, 1, 0
	ds_store_b16 v91, v66 offset:2880
	ds_store_b16 v91, v69 offset:3360
	v_add3_u32 v8, 0, v8, v67
	v_fma_f16 v64, v64, 2.0, -v68
	v_fma_f16 v65, v65, 2.0, -v70
	v_mul_u32_u24_e32 v66, 0x3c0, v90
	v_lshlrev_b32_e32 v67, 1, v100
	ds_store_b16 v8, v64
	ds_store_b16 v8, v68 offset:480
	ds_store_b16 v92, v65 offset:3840
	;; [unrolled: 1-line block ×3, first 2 shown]
	v_sub_f16_e32 v64, v61, v80
	v_sub_f16_e32 v65, v63, v77
	v_add3_u32 v90, 0, v66, v67
	v_mul_u32_u24_e32 v66, 0x3c0, v104
	v_lshlrev_b32_e32 v67, 1, v107
	v_sub_f16_e32 v68, v62, v76
	v_fma_f16 v61, v61, 2.0, -v64
	v_fma_f16 v63, v63, 2.0, -v65
	v_lshl_add_u32 v97, v102, 1, 0
	v_add3_u32 v98, 0, v66, v67
	v_fma_f16 v62, v62, 2.0, -v68
	ds_store_b16 v90, v61
	ds_store_b16 v90, v64 offset:480
	ds_store_b16 v97, v63 offset:4800
	;; [unrolled: 1-line block ×3, first 2 shown]
	ds_store_b16 v98, v62
	ds_store_b16 v98, v68 offset:480
	v_sub_f16_e32 v61, v39, v75
	v_mul_u32_u24_e32 v62, 0x3c0, v109
	v_lshlrev_b32_e32 v63, 1, v111
	v_sub_f16_e32 v64, v9, v74
	v_sub_f16_e32 v65, v60, v73
	v_fma_f16 v39, v39, 2.0, -v61
	v_lshl_add_u32 v100, v106, 1, 0
	v_add3_u32 v102, 0, v62, v63
	v_fma_f16 v9, v9, 2.0, -v64
	v_fma_f16 v60, v60, 2.0, -v65
	v_lshl_add_u32 v104, v110, 1, 0
	ds_store_b16 v100, v39 offset:5760
	ds_store_b16 v100, v61 offset:6240
	ds_store_b16 v102, v9
	ds_store_b16 v102, v64 offset:480
	ds_store_b16 v104, v60 offset:6720
	;; [unrolled: 1-line block ×3, first 2 shown]
	v_sub_f16_e32 v9, v114, v127
	v_sub_f16_e32 v106, v115, v118
	;; [unrolled: 1-line block ×3, first 2 shown]
	global_wb scope:SCOPE_SE
	s_wait_dscnt 0x0
	s_barrier_signal -1
	v_fma_f16 v107, v114, 2.0, -v9
	s_barrier_wait -1
	global_inv scope:SCOPE_SE
	ds_load_u16 v67, v52
	ds_load_u16 v73, v49
	ds_load_u16 v88, v49 offset:3840
	ds_load_u16 v87, v49 offset:4096
	;; [unrolled: 1-line block ×7, first 2 shown]
	ds_load_u16 v68, v18
	ds_load_u16 v65, v19
	;; [unrolled: 1-line block ×13, first 2 shown]
	ds_load_u16 v84, v49 offset:5632
	ds_load_u16 v82, v49 offset:5888
	ds_load_u16 v80, v49 offset:6144
	ds_load_u16 v78, v49 offset:6400
	ds_load_u16 v77, v49 offset:6656
	ds_load_u16 v76, v49 offset:6912
	ds_load_u16 v75, v49 offset:7168
	ds_load_u16 v74, v49 offset:7424
	global_wb scope:SCOPE_SE
	s_wait_dscnt 0x0
	s_barrier_signal -1
	s_barrier_wait -1
	global_inv scope:SCOPE_SE
	ds_store_b16 v49, v125
	ds_store_b16 v49, v120 offset:480
	v_fma_f16 v109, v115, 2.0, -v106
	ds_store_b16 v2, v107
	ds_store_b16 v2, v9 offset:480
	v_sub_f16_e32 v2, v124, v94
	v_fma_f16 v9, v126, 2.0, -v93
	ds_store_b16 v1, v109 offset:992
	ds_store_b16 v1, v106 offset:1472
	v_sub_f16_e32 v94, v116, v96
	v_fma_f16 v96, v124, 2.0, -v2
	ds_store_b16 v89, v9
	ds_store_b16 v89, v93 offset:480
	v_sub_f16_e32 v9, v117, v122
	ds_store_b16 v7, v96 offset:1920
	ds_store_b16 v7, v2 offset:2400
	v_fma_f16 v89, v116, 2.0, -v94
	v_sub_f16_e32 v2, v119, v95
	v_fma_f16 v7, v117, 2.0, -v9
	ds_store_b16 v6, v89
	ds_store_b16 v6, v94 offset:480
	v_sub_f16_e32 v6, v121, v99
	v_fma_f16 v89, v119, 2.0, -v2
	ds_store_b16 v91, v7 offset:2880
	ds_store_b16 v91, v9 offset:3360
	v_sub_f16_e32 v7, v123, v105
	ds_store_b16 v8, v89
	ds_store_b16 v8, v2 offset:480
	v_fma_f16 v9, v121, 2.0, -v6
	v_fma_f16 v2, v123, 2.0, -v7
	v_sub_f16_e64 v91, v128, v103
	ds_store_b16 v92, v9 offset:3840
	ds_store_b16 v92, v6 offset:4320
	v_sub_f16_e64 v6, v129, v101
	ds_store_b16 v90, v2
	ds_store_b16 v90, v7 offset:480
	v_sub_f16_e64 v2, v130, v108
	v_fma_f16 v8, v128, 2.0, -v91
	ds_store_b16 v97, v8 offset:4800
	ds_store_b16 v97, v91 offset:5280
	v_fma_f16 v7, v129, 2.0, -v6
	v_fma_f16 v89, v130, 2.0, -v2
	v_sub_f16_e64 v8, v131, v112
	v_sub_f16_e64 v9, v132, v113
	ds_store_b16 v98, v7
	ds_store_b16 v98, v6 offset:480
	ds_store_b16 v100, v89 offset:5760
	;; [unrolled: 1-line block ×3, first 2 shown]
	v_add_nc_u32_e32 v2, 0xffffffa0, v0
	v_fma_f16 v90, v131, 2.0, -v8
	v_fma_f16 v91, v132, 2.0, -v9
	v_lshlrev_b64_e32 v[6:7], 2, v[26:27]
	ds_store_b16 v102, v90
	ds_store_b16 v102, v8 offset:480
	ds_store_b16 v104, v91 offset:6720
	;; [unrolled: 1-line block ×3, first 2 shown]
	s_wait_alu 0xf1ff
	v_cndmask_b32_e64 v2, v2, v47, s0
	v_lshlrev_b64_e32 v[8:9], 2, v[28:29]
	v_add_co_u32 v6, s0, s8, v6
	global_wb scope:SCOPE_SE
	s_wait_dscnt 0x0
	v_lshlrev_b64_e32 v[89:90], 2, v[2:3]
	s_barrier_signal -1
	s_barrier_wait -1
	global_inv scope:SCOPE_SE
	global_load_b32 v27, v[4:5], off offset:1880
	s_wait_alu 0xf1ff
	v_add_co_ci_u32_e64 v7, s0, s9, v7, s0
	v_add_co_u32 v8, s0, s8, v8
	s_wait_alu 0xf1ff
	v_add_co_ci_u32_e64 v9, s0, s9, v9, s0
	global_load_b32 v29, v[6:7], off offset:1880
	v_add_co_u32 v89, s0, s8, v89
	s_wait_alu 0xf1ff
	v_add_co_ci_u32_e64 v90, s0, s9, v90, s0
	s_clause 0x1
	global_load_b32 v91, v[8:9], off offset:1880
	global_load_b32 v89, v[89:90], off offset:1880
	v_mul_lo_u16 v90, 0x1e0, v10
	s_clause 0x2
	global_load_b32 v92, v[4:5], off offset:2008
	global_load_b32 v93, v[4:5], off offset:2520
	;; [unrolled: 1-line block ×3, first 2 shown]
	v_mul_lo_u16 v97, 0x1e0, v15
	v_sub_nc_u16 v90, v30, v90
	v_lshlrev_b32_e32 v96, 2, v11
	v_lshlrev_b32_e32 v98, 2, v12
	;; [unrolled: 1-line block ×3, first 2 shown]
	v_sub_nc_u16 v97, v34, v97
	v_and_b32_e32 v90, 0xffff, v90
	s_clause 0x2
	global_load_b32 v96, v96, s[8:9] offset:1880
	global_load_b32 v98, v98, s[8:9] offset:1880
	;; [unrolled: 1-line block ×3, first 2 shown]
	v_and_b32_e32 v97, 0xffff, v97
	v_lshlrev_b32_e32 v95, 2, v90
	v_lshlrev_b32_e32 v101, 2, v13
	v_lshlrev_b32_e32 v102, 2, v17
	v_lshlrev_b32_e32 v103, 2, v16
	v_lshlrev_b32_e32 v100, 2, v97
	global_load_b32 v95, v95, s[8:9] offset:1880
	v_cmp_lt_u32_e64 s0, 0x1df, v47
	v_lshlrev_b32_e32 v2, 1, v2
	v_mul_u32_u24_e32 v10, 0x780, v10
	s_clause 0x3
	global_load_b32 v100, v100, s[8:9] offset:1880
	global_load_b32 v101, v101, s[8:9] offset:1880
	;; [unrolled: 1-line block ×4, first 2 shown]
	ds_load_u16 v104, v49 offset:3840
	ds_load_u16 v105, v49 offset:4096
	;; [unrolled: 1-line block ×7, first 2 shown]
	ds_load_u16 v112, v49
	v_lshl_add_u32 v11, v11, 1, 0
	v_lshl_add_u32 v12, v12, 1, 0
	v_mul_u32_u24_e32 v15, 0x780, v15
	v_lshl_add_u32 v14, v14, 1, 0
	v_lshl_add_u32 v13, v13, 1, 0
	;; [unrolled: 1-line block ×4, first 2 shown]
	s_wait_loadcnt 0xe
	v_lshrrev_b32_e32 v107, 16, v27
	s_wait_dscnt 0x7
	s_delay_alu instid0(VALU_DEP_1) | instskip(SKIP_3) | instid1(VALU_DEP_3)
	v_mul_f16_e32 v113, v104, v107
	v_mul_f16_e32 v107, v88, v107
	s_wait_loadcnt 0xd
	v_lshrrev_b32_e32 v114, 16, v29
	v_fma_f16 v88, v88, v27, -v113
	s_delay_alu instid0(VALU_DEP_3) | instskip(SKIP_1) | instid1(VALU_DEP_3)
	v_fmac_f16_e32 v107, v104, v27
	s_wait_dscnt 0x6
	v_mul_f16_e32 v113, v105, v114
	s_wait_loadcnt 0xc
	v_lshrrev_b32_e32 v115, 16, v91
	v_mul_f16_e32 v104, v87, v114
	s_wait_loadcnt 0xb
	v_lshrrev_b32_e32 v27, 16, v89
	v_fma_f16 v87, v87, v29, -v113
	s_wait_dscnt 0x5
	v_mul_f16_e32 v113, v106, v115
	v_mul_f16_e32 v114, v86, v115
	v_fmac_f16_e32 v104, v105, v29
	s_wait_dscnt 0x4
	v_mul_f16_e32 v29, v108, v27
	s_wait_loadcnt 0xa
	v_lshrrev_b32_e32 v105, 16, v92
	v_fma_f16 v86, v86, v91, -v113
	v_fmac_f16_e32 v114, v106, v91
	v_mul_f16_e32 v91, v85, v27
	v_fma_f16 v27, v85, v89, -v29
	s_wait_dscnt 0x3
	v_mul_f16_e32 v29, v109, v105
	v_mul_f16_e32 v105, v83, v105
	s_wait_loadcnt 0x9
	v_lshrrev_b32_e32 v85, 16, v93
	ds_load_u16 v106, v49 offset:5632
	v_fmac_f16_e32 v91, v108, v89
	v_fma_f16 v29, v83, v92, -v29
	s_wait_loadcnt 0x8
	v_lshrrev_b32_e32 v83, 16, v94
	s_wait_dscnt 0x3
	v_mul_f16_e32 v89, v110, v85
	v_fmac_f16_e32 v105, v109, v92
	ds_load_u16 v92, v49 offset:5888
	v_mul_f16_e32 v108, v81, v85
	s_wait_dscnt 0x3
	v_mul_f16_e32 v85, v111, v83
	v_fma_f16 v81, v81, v93, -v89
	ds_load_u16 v89, v49 offset:6144
	v_mul_f16_e32 v109, v79, v83
	ds_load_u16 v83, v49 offset:6400
	v_fma_f16 v79, v79, v94, -v85
	s_wait_loadcnt 0x4
	v_lshrrev_b32_e32 v85, 16, v95
	v_fmac_f16_e32 v108, v110, v93
	ds_load_u16 v93, v49 offset:6656
	ds_load_u16 v110, v49 offset:6912
	;; [unrolled: 1-line block ×4, first 2 shown]
	v_lshrrev_b32_e32 v117, 16, v96
	v_fmac_f16_e32 v109, v111, v94
	v_mul_f16_e32 v118, v84, v85
	s_wait_dscnt 0x7
	v_mul_f16_e32 v116, v106, v85
	v_lshrrev_b32_e32 v85, 16, v98
	v_sub_f16_e32 v86, v71, v86
	v_sub_f16_e32 v27, v70, v27
	v_fmac_f16_e32 v118, v106, v95
	v_fma_f16 v84, v84, v95, -v116
	s_wait_dscnt 0x6
	v_mul_f16_e32 v94, v92, v117
	v_mul_f16_e32 v95, v82, v117
	v_lshrrev_b32_e32 v106, 16, v99
	v_fma_f16 v71, v71, 2.0, -v86
	s_wait_dscnt 0x5
	v_mul_f16_e32 v111, v89, v85
	v_fma_f16 v82, v82, v96, -v94
	v_mul_f16_e32 v94, v80, v85
	v_fmac_f16_e32 v95, v92, v96
	s_wait_dscnt 0x4
	v_mul_f16_e32 v85, v83, v106
	s_wait_loadcnt 0x3
	v_lshrrev_b32_e32 v92, 16, v100
	v_mul_f16_e32 v96, v78, v106
	v_fmac_f16_e32 v94, v89, v98
	s_wait_loadcnt 0x2
	v_lshrrev_b32_e32 v89, 16, v101
	v_fma_f16 v78, v78, v99, -v85
	s_wait_dscnt 0x3
	v_mul_f16_e32 v85, v93, v92
	v_fma_f16 v80, v80, v98, -v111
	v_fmac_f16_e32 v96, v83, v99
	v_mul_f16_e32 v92, v77, v92
	s_wait_loadcnt 0x1
	v_lshrrev_b32_e32 v83, 16, v102
	s_wait_loadcnt 0x0
	v_lshrrev_b32_e32 v98, 16, v103
	v_fma_f16 v77, v77, v100, -v85
	s_wait_dscnt 0x2
	v_mul_f16_e32 v85, v110, v89
	v_fmac_f16_e32 v92, v93, v100
	s_wait_dscnt 0x1
	v_mul_f16_e32 v93, v113, v83
	v_mul_f16_e32 v99, v75, v83
	s_wait_dscnt 0x0
	v_mul_f16_e32 v83, v115, v98
	v_mul_f16_e32 v89, v76, v89
	v_fma_f16 v76, v76, v101, -v85
	v_sub_f16_e32 v85, v73, v88
	v_fma_f16 v75, v75, v102, -v93
	v_mul_f16_e32 v93, v74, v98
	v_fma_f16 v74, v74, v103, -v83
	v_sub_f16_e32 v83, v72, v87
	v_sub_f16_e32 v88, v112, v107
	v_fma_f16 v73, v73, 2.0, -v85
	v_fmac_f16_e32 v89, v110, v101
	v_fmac_f16_e32 v99, v113, v102
	v_fma_f16 v72, v72, 2.0, -v83
	v_fmac_f16_e32 v93, v115, v103
	v_fma_f16 v98, v112, 2.0, -v88
	ds_load_u16 v100, v37
	ds_load_u16 v101, v35
	;; [unrolled: 1-line block ×14, first 2 shown]
	global_wb scope:SCOPE_SE
	s_wait_dscnt 0x0
	s_barrier_signal -1
	s_barrier_wait -1
	global_inv scope:SCOPE_SE
	ds_store_b16 v49, v73
	ds_store_b16 v49, v85 offset:960
	s_wait_alu 0xf1ff
	v_cndmask_b32_e64 v73, 0, 0x780, s0
	v_sub_f16_e32 v29, v69, v29
	ds_store_b16 v37, v72
	ds_store_b16 v37, v83 offset:960
	v_sub_f16_e32 v72, v67, v81
	v_fma_f16 v70, v70, 2.0, -v27
	v_add3_u32 v2, 0, v73, v2
	v_sub_f16_e32 v73, v68, v79
	ds_store_b16 v35, v71
	ds_store_b16 v35, v86 offset:960
	v_fma_f16 v69, v69, 2.0, -v29
	v_lshlrev_b32_e32 v71, 1, v90
	v_sub_f16_e32 v79, v65, v84
	v_fma_f16 v67, v67, 2.0, -v72
	v_fma_f16 v68, v68, 2.0, -v73
	v_sub_f16_e32 v81, v66, v82
	ds_store_b16 v2, v70
	ds_store_b16 v2, v27 offset:960
	v_add3_u32 v10, 0, v10, v71
	v_fma_f16 v27, v65, 2.0, -v79
	ds_store_b16 v1, v69 offset:1984
	ds_store_b16 v1, v67 offset:2240
	;; [unrolled: 1-line block ×6, first 2 shown]
	v_sub_f16_e32 v29, v64, v80
	v_fma_f16 v65, v66, 2.0, -v81
	ds_store_b16 v10, v27
	ds_store_b16 v10, v79 offset:960
	ds_store_b16 v11, v65 offset:3840
	;; [unrolled: 1-line block ×3, first 2 shown]
	v_fma_f16 v27, v64, 2.0, -v29
	v_sub_f16_e32 v64, v63, v78
	v_lshlrev_b32_e32 v65, 1, v97
	v_sub_f16_e32 v66, v62, v77
	v_sub_f16_e32 v87, v100, v104
	ds_store_b16 v12, v27 offset:3840
	v_fma_f16 v63, v63, 2.0, -v64
	v_add3_u32 v15, 0, v15, v65
	v_fma_f16 v27, v62, 2.0, -v66
	ds_store_b16 v12, v29 offset:4800
	ds_store_b16 v14, v63 offset:3840
	;; [unrolled: 1-line block ×3, first 2 shown]
	v_sub_f16_e32 v29, v39, v76
	v_sub_f16_e32 v62, v60, v75
	ds_store_b16 v15, v27
	ds_store_b16 v15, v66 offset:960
	v_sub_f16_e32 v27, v61, v74
	v_sub_f16_e32 v90, v101, v114
	v_fma_f16 v39, v39, 2.0, -v29
	v_fma_f16 v97, v100, 2.0, -v87
	;; [unrolled: 1-line block ×4, first 2 shown]
	ds_store_b16 v13, v39 offset:5760
	ds_store_b16 v13, v29 offset:6720
	;; [unrolled: 1-line block ×6, first 2 shown]
	global_wb scope:SCOPE_SE
	s_wait_dscnt 0x0
	s_barrier_signal -1
	s_barrier_wait -1
	global_inv scope:SCOPE_SE
	ds_load_u16 v65, v52
	ds_load_u16 v71, v49
	ds_load_u16 v86, v49 offset:3840
	ds_load_u16 v85, v49 offset:4096
	;; [unrolled: 1-line block ×7, first 2 shown]
	ds_load_u16 v66, v18
	ds_load_u16 v64, v19
	;; [unrolled: 1-line block ×13, first 2 shown]
	ds_load_u16 v82, v49 offset:5632
	ds_load_u16 v80, v49 offset:5888
	;; [unrolled: 1-line block ×8, first 2 shown]
	global_wb scope:SCOPE_SE
	s_wait_dscnt 0x0
	s_barrier_signal -1
	s_barrier_wait -1
	global_inv scope:SCOPE_SE
	ds_store_b16 v49, v98
	ds_store_b16 v49, v88 offset:960
	v_sub_f16_e32 v88, v112, v91
	v_fma_f16 v98, v101, 2.0, -v90
	ds_store_b16 v37, v97
	ds_store_b16 v37, v87 offset:960
	v_sub_f16_e32 v87, v111, v105
	v_sub_f16_e32 v91, v102, v108
	;; [unrolled: 1-line block ×3, first 2 shown]
	v_fma_f16 v97, v112, 2.0, -v88
	ds_store_b16 v35, v98
	ds_store_b16 v35, v90 offset:960
	v_fma_f16 v90, v111, 2.0, -v87
	v_sub_f16_e32 v101, v106, v118
	v_fma_f16 v98, v102, 2.0, -v91
	v_fma_f16 v102, v103, 2.0, -v100
	ds_store_b16 v2, v97
	ds_store_b16 v2, v88 offset:960
	v_sub_f16_e32 v2, v107, v95
	v_fma_f16 v88, v106, 2.0, -v101
	ds_store_b16 v1, v90 offset:1984
	ds_store_b16 v1, v98 offset:2240
	;; [unrolled: 1-line block ×6, first 2 shown]
	v_sub_f16_e32 v87, v110, v94
	v_sub_f16_e32 v90, v113, v96
	v_fma_f16 v91, v107, 2.0, -v2
	ds_store_b16 v10, v88
	ds_store_b16 v10, v101 offset:960
	ds_store_b16 v11, v91 offset:3840
	;; [unrolled: 1-line block ×3, first 2 shown]
	v_fma_f16 v10, v110, 2.0, -v87
	v_fma_f16 v88, v113, 2.0, -v90
	v_sub_f16_e32 v2, v115, v92
	ds_store_b16 v12, v10 offset:3840
	ds_store_b16 v12, v87 offset:4800
	;; [unrolled: 1-line block ×3, first 2 shown]
	v_sub_f16_e32 v10, v116, v89
	v_sub_f16_e32 v11, v117, v99
	v_fma_f16 v12, v115, 2.0, -v2
	ds_store_b16 v14, v90 offset:4800
	v_sub_f16_e32 v14, v119, v93
	v_fma_f16 v87, v116, 2.0, -v10
	v_fma_f16 v88, v117, 2.0, -v11
	ds_store_b16 v15, v12
	ds_store_b16 v15, v2 offset:960
	v_fma_f16 v2, v119, 2.0, -v14
	ds_store_b16 v13, v87 offset:5760
	ds_store_b16 v13, v10 offset:6720
	;; [unrolled: 1-line block ×6, first 2 shown]
	v_lshlrev_b64_e32 v[10:11], 2, v[47:48]
	global_wb scope:SCOPE_SE
	s_wait_dscnt 0x0
	s_barrier_signal -1
	s_barrier_wait -1
	global_inv scope:SCOPE_SE
	global_load_b32 v47, v[4:5], off offset:3800
	v_lshlrev_b64_e32 v[12:13], 2, v[45:46]
	s_clause 0x1
	global_load_b32 v45, v[6:7], off offset:3800
	global_load_b32 v46, v[8:9], off offset:3800
	v_add_co_u32 v10, s0, s8, v10
	v_lshlrev_b64_e32 v[14:15], 2, v[41:42]
	s_wait_alu 0xf1ff
	v_add_co_ci_u32_e64 v11, s0, s9, v11, s0
	v_add_co_u32 v12, s0, s8, v12
	s_wait_alu 0xf1ff
	v_add_co_ci_u32_e64 v13, s0, s9, v13, s0
	v_add_co_u32 v14, s0, s8, v14
	v_lshlrev_b64_e32 v[16:17], 2, v[43:44]
	s_wait_alu 0xf1ff
	v_add_co_ci_u32_e64 v15, s0, s9, v15, s0
	v_add_nc_u32_e32 v2, 0xfffffc40, v30
	v_cmp_gt_u32_e64 s0, 0x3c0, v30
	s_clause 0x2
	global_load_b32 v43, v[10:11], off offset:3800
	global_load_b32 v44, v[12:13], off offset:3800
	;; [unrolled: 1-line block ×3, first 2 shown]
	s_wait_alu 0xf1ff
	v_cndmask_b32_e64 v2, v2, v30, s0
	v_add_co_u32 v16, s0, s8, v16
	s_wait_alu 0xf1ff
	v_add_co_ci_u32_e64 v17, s0, s9, v17, s0
	s_delay_alu instid0(VALU_DEP_3)
	v_lshlrev_b64_e32 v[41:42], 2, v[2:3]
	v_lshlrev_b32_e32 v2, 1, v2
	global_load_b32 v87, v[16:17], off offset:3800
	v_add_co_u32 v41, s0, s8, v41
	s_wait_alu 0xf1ff
	v_add_co_ci_u32_e64 v42, s0, s9, v42, s0
	s_clause 0x7
	global_load_b32 v41, v[41:42], off offset:3800
	global_load_b32 v42, v[4:5], off offset:4056
	;; [unrolled: 1-line block ×8, first 2 shown]
	ds_load_u16 v94, v49 offset:3840
	ds_load_u16 v95, v49 offset:4096
	;; [unrolled: 1-line block ×7, first 2 shown]
	ds_load_u16 v102, v49
	v_cmp_lt_u32_e64 s0, 0x3bf, v30
	s_wait_loadcnt 0xe
	v_lshrrev_b32_e32 v97, 16, v47
	s_wait_loadcnt 0xd
	v_lshrrev_b32_e32 v104, 16, v45
	;; [unrolled: 2-line block ×3, first 2 shown]
	s_wait_dscnt 0x7
	v_mul_f16_e32 v103, v94, v97
	v_mul_f16_e32 v97, v86, v97
	s_delay_alu instid0(VALU_DEP_2) | instskip(SKIP_2) | instid1(VALU_DEP_3)
	v_fma_f16 v86, v86, v47, -v103
	s_wait_dscnt 0x6
	v_mul_f16_e32 v103, v95, v104
	v_fmac_f16_e32 v97, v94, v47
	v_mul_f16_e32 v94, v85, v104
	v_mul_f16_e32 v104, v84, v105
	s_delay_alu instid0(VALU_DEP_4)
	v_fma_f16 v85, v85, v45, -v103
	s_wait_dscnt 0x5
	v_mul_f16_e32 v103, v96, v105
	v_fmac_f16_e32 v94, v95, v45
	s_wait_loadcnt 0xb
	v_lshrrev_b32_e32 v47, 16, v43
	s_wait_loadcnt 0xa
	v_lshrrev_b32_e32 v95, 16, v44
	v_fmac_f16_e32 v104, v96, v46
	v_fma_f16 v84, v84, v46, -v103
	s_wait_dscnt 0x4
	v_mul_f16_e32 v45, v98, v47
	v_mul_f16_e32 v96, v83, v47
	s_wait_dscnt 0x3
	v_mul_f16_e32 v46, v99, v95
	s_wait_loadcnt 0x9
	v_lshrrev_b32_e32 v47, 16, v48
	v_fma_f16 v45, v83, v43, -v45
	v_mul_f16_e32 v83, v81, v95
	ds_load_u16 v95, v49 offset:5632
	v_fmac_f16_e32 v96, v98, v43
	v_fma_f16 v43, v81, v44, -v46
	s_wait_loadcnt 0x8
	v_lshrrev_b32_e32 v46, 16, v87
	s_wait_dscnt 0x3
	v_mul_f16_e32 v81, v100, v47
	v_fmac_f16_e32 v83, v99, v44
	ds_load_u16 v44, v49 offset:5888
	v_mul_f16_e32 v98, v79, v47
	s_wait_dscnt 0x3
	v_mul_f16_e32 v47, v101, v46
	v_fma_f16 v79, v79, v48, -v81
	ds_load_u16 v81, v49 offset:6144
	v_mul_f16_e32 v99, v77, v46
	v_fmac_f16_e32 v98, v100, v48
	v_fma_f16 v46, v77, v87, -v47
	ds_load_u16 v47, v49 offset:6400
	s_wait_loadcnt 0x7
	v_lshrrev_b32_e32 v48, 16, v41
	ds_load_u16 v77, v49 offset:6656
	ds_load_u16 v100, v49 offset:6912
	;; [unrolled: 1-line block ×4, first 2 shown]
	s_wait_loadcnt 0x6
	v_lshrrev_b32_e32 v107, 16, v42
	v_fmac_f16_e32 v99, v101, v87
	v_sub_f16_e32 v45, v68, v45
	s_wait_dscnt 0x7
	v_mul_f16_e32 v106, v95, v48
	v_mul_f16_e32 v108, v82, v48
	s_wait_loadcnt 0x5
	v_lshrrev_b32_e32 v48, 16, v88
	v_sub_f16_e32 v43, v67, v43
	v_fma_f16 v68, v68, 2.0, -v45
	v_fma_f16 v82, v82, v41, -v106
	s_wait_dscnt 0x6
	v_mul_f16_e32 v87, v44, v107
	v_fmac_f16_e32 v108, v95, v41
	v_mul_f16_e32 v41, v80, v107
	s_wait_loadcnt 0x4
	v_lshrrev_b32_e32 v95, 16, v89
	s_wait_dscnt 0x5
	v_mul_f16_e32 v101, v81, v48
	v_fma_f16 v80, v80, v42, -v87
	v_mul_f16_e32 v87, v78, v48
	v_fmac_f16_e32 v41, v44, v42
	s_wait_dscnt 0x4
	v_mul_f16_e32 v42, v47, v95
	s_wait_loadcnt 0x3
	v_lshrrev_b32_e32 v44, 16, v90
	v_mul_f16_e32 v95, v76, v95
	v_fmac_f16_e32 v87, v81, v88
	v_fma_f16 v48, v78, v88, -v101
	v_fma_f16 v42, v76, v89, -v42
	s_wait_dscnt 0x3
	v_mul_f16_e32 v76, v77, v44
	v_mul_f16_e32 v81, v75, v44
	s_wait_loadcnt 0x1
	v_lshrrev_b32_e32 v44, 16, v92
	v_lshrrev_b32_e32 v78, 16, v91
	v_fmac_f16_e32 v95, v47, v89
	v_fma_f16 v47, v75, v90, -v76
	v_fmac_f16_e32 v81, v77, v90
	s_wait_dscnt 0x1
	v_mul_f16_e32 v76, v103, v44
	s_wait_loadcnt 0x0
	v_lshrrev_b32_e32 v77, 16, v93
	v_mul_f16_e32 v75, v100, v78
	v_mul_f16_e32 v89, v73, v44
	v_mul_f16_e32 v88, v74, v78
	v_fma_f16 v44, v73, v92, -v76
	s_wait_dscnt 0x0
	v_mul_f16_e32 v73, v105, v77
	v_fma_f16 v74, v74, v91, -v75
	v_mul_f16_e32 v90, v72, v77
	v_sub_f16_e32 v75, v71, v86
	v_sub_f16_e32 v86, v102, v97
	v_fma_f16 v72, v72, v93, -v73
	v_sub_f16_e32 v73, v70, v85
	v_sub_f16_e32 v76, v69, v84
	v_fma_f16 v71, v71, 2.0, -v75
	v_fmac_f16_e32 v88, v100, v91
	v_fmac_f16_e32 v89, v103, v92
	v_fma_f16 v70, v70, 2.0, -v73
	v_fmac_f16_e32 v90, v105, v93
	v_fma_f16 v91, v102, 2.0, -v86
	ds_load_u16 v92, v37
	ds_load_u16 v93, v35
	;; [unrolled: 1-line block ×14, first 2 shown]
	global_wb scope:SCOPE_SE
	s_wait_dscnt 0x0
	s_barrier_signal -1
	s_barrier_wait -1
	global_inv scope:SCOPE_SE
	ds_store_b16 v49, v71
	ds_store_b16 v49, v75 offset:1920
	v_fma_f16 v69, v69, 2.0, -v76
	ds_store_b16 v37, v70
	ds_store_b16 v37, v73 offset:1920
	v_sub_f16_e32 v70, v65, v79
	v_fma_f16 v67, v67, 2.0, -v43
	v_sub_f16_e32 v46, v66, v46
	ds_store_b16 v35, v69
	ds_store_b16 v35, v76 offset:1920
	ds_store_b16 v54, v68
	ds_store_b16 v54, v45 offset:1920
	v_fma_f16 v45, v65, 2.0, -v70
	ds_store_b16 v55, v67
	ds_store_b16 v55, v43 offset:1920
	v_fma_f16 v43, v66, 2.0, -v46
	ds_store_b16 v52, v45
	ds_store_b16 v52, v70 offset:1920
	v_sub_f16_e32 v45, v63, v80
	ds_store_b16 v18, v43
	ds_store_b16 v18, v46 offset:1920
	v_sub_f16_e32 v43, v62, v48
	s_wait_alu 0xf1ff
	v_cndmask_b32_e64 v65, 0, 0xf00, s0
	v_sub_f16_e32 v66, v64, v82
	v_sub_f16_e32 v42, v27, v42
	;; [unrolled: 1-line block ×3, first 2 shown]
	v_fma_f16 v46, v63, 2.0, -v45
	v_fma_f16 v48, v62, 2.0, -v43
	v_sub_f16_e32 v62, v39, v74
	v_sub_f16_e32 v44, v60, v44
	;; [unrolled: 1-line block ×3, first 2 shown]
	v_add3_u32 v2, 0, v65, v2
	v_fma_f16 v64, v64, 2.0, -v66
	v_fma_f16 v27, v27, 2.0, -v42
	;; [unrolled: 1-line block ×6, first 2 shown]
	ds_store_b16 v2, v64
	ds_store_b16 v2, v66 offset:1920
	ds_store_b16 v1, v46 offset:3968
	;; [unrolled: 1-line block ×15, first 2 shown]
	global_wb scope:SCOPE_SE
	s_wait_dscnt 0x0
	s_barrier_signal -1
	s_barrier_wait -1
	global_inv scope:SCOPE_SE
	ds_load_u16 v29, v52
	ds_load_u16 v27, v49
	ds_load_u16 v66, v49 offset:3840
	ds_load_u16 v67, v49 offset:4096
	;; [unrolled: 1-line block ×7, first 2 shown]
	ds_load_u16 v42, v18
	ds_load_u16 v43, v19
	;; [unrolled: 1-line block ×13, first 2 shown]
	ds_load_u16 v73, v49 offset:5632
	ds_load_u16 v74, v49 offset:5888
	;; [unrolled: 1-line block ×8, first 2 shown]
	v_sub_f16_e32 v39, v92, v94
	v_sub_f16_e32 v82, v93, v104
	global_wb scope:SCOPE_SE
	s_wait_dscnt 0x0
	s_barrier_signal -1
	s_barrier_wait -1
	v_fma_f16 v84, v92, 2.0, -v39
	global_inv scope:SCOPE_SE
	ds_store_b16 v49, v91
	ds_store_b16 v49, v86 offset:1920
	v_sub_f16_e32 v85, v106, v96
	v_fma_f16 v86, v93, 2.0, -v82
	ds_store_b16 v37, v84
	ds_store_b16 v37, v39 offset:1920
	v_sub_f16_e32 v37, v105, v83
	ds_store_b16 v35, v86
	ds_store_b16 v35, v82 offset:1920
	v_fma_f16 v39, v106, 2.0, -v85
	v_sub_f16_e32 v35, v97, v98
	v_fma_f16 v82, v105, 2.0, -v37
	v_sub_f16_e32 v83, v100, v99
	ds_store_b16 v54, v39
	ds_store_b16 v54, v85 offset:1920
	v_fma_f16 v39, v97, 2.0, -v35
	ds_store_b16 v55, v82
	ds_store_b16 v55, v37 offset:1920
	v_sub_f16_e32 v37, v101, v108
	v_fma_f16 v82, v100, 2.0, -v83
	ds_store_b16 v52, v39
	ds_store_b16 v52, v35 offset:1920
	v_sub_f16_e32 v35, v102, v41
	v_fma_f16 v39, v101, 2.0, -v37
	v_sub_f16_e32 v41, v103, v87
	ds_store_b16 v18, v82
	ds_store_b16 v18, v83 offset:1920
	v_sub_f16_e32 v83, v107, v95
	ds_store_b16 v2, v39
	ds_store_b16 v2, v37 offset:1920
	v_sub_f16_e32 v37, v109, v81
	v_sub_f16_e32 v39, v110, v88
	v_fma_f16 v82, v102, 2.0, -v35
	v_sub_f16_e32 v81, v111, v89
	v_sub_f16_e32 v84, v112, v90
	v_fma_f16 v2, v103, 2.0, -v41
	v_fma_f16 v85, v107, 2.0, -v83
	;; [unrolled: 1-line block ×6, first 2 shown]
	ds_store_b16 v1, v82 offset:3968
	ds_store_b16 v1, v2 offset:4224
	;; [unrolled: 1-line block ×14, first 2 shown]
	global_wb scope:SCOPE_SE
	s_wait_dscnt 0x0
	s_barrier_signal -1
	s_barrier_wait -1
	global_inv scope:SCOPE_SE
	s_and_saveexec_b32 s0, vcc_lo
	s_cbranch_execz .LBB0_15
; %bb.14:
	v_mov_b32_e32 v41, v3
	v_mov_b32_e32 v35, v3
	;; [unrolled: 1-line block ×3, first 2 shown]
	v_dual_mov_b32 v37, v3 :: v_dual_add_nc_u32 v100, 0x380, v0
	s_delay_alu instid0(VALU_DEP_4) | instskip(NEXT) | instid1(VALU_DEP_4)
	v_lshlrev_b64_e32 v[1:2], 2, v[40:41]
	v_lshlrev_b64_e32 v[40:41], 2, v[34:35]
	v_mov_b32_e32 v34, v3
	s_delay_alu instid0(VALU_DEP_4) | instskip(NEXT) | instid1(VALU_DEP_4)
	v_lshlrev_b64_e32 v[36:37], 2, v[36:37]
	v_add_co_u32 v1, vcc_lo, s8, v1
	s_delay_alu instid0(VALU_DEP_3) | instskip(SKIP_3) | instid1(VALU_DEP_2)
	v_lshlrev_b64_e32 v[81:82], 2, v[33:34]
	v_mov_b32_e32 v33, v3
	s_wait_alu 0xfffd
	v_add_co_ci_u32_e32 v2, vcc_lo, s9, v2, vcc_lo
	v_lshlrev_b64_e32 v[33:34], 2, v[32:33]
	v_mov_b32_e32 v32, v3
	v_lshlrev_b64_e32 v[38:39], 2, v[38:39]
	global_load_b32 v1, v[1:2], off offset:7640
	v_mul_i32_i24_e32 v2, 0xffffffee, v26
	v_add_co_u32 v38, vcc_lo, s8, v38
	s_wait_alu 0xfffd
	v_add_co_ci_u32_e32 v39, vcc_lo, s9, v39, vcc_lo
	v_add_co_u32 v35, vcc_lo, s8, v36
	s_wait_alu 0xfffd
	v_add_co_ci_u32_e32 v36, vcc_lo, s9, v37, vcc_lo
	;; [unrolled: 3-line block ×4, first 2 shown]
	s_clause 0x3
	global_load_b32 v37, v[38:39], off offset:7640
	global_load_b32 v38, v[35:36], off offset:7640
	;; [unrolled: 1-line block ×4, first 2 shown]
	v_lshlrev_b64_e32 v[35:36], 2, v[31:32]
	v_mov_b32_e32 v31, v3
	v_add_co_u32 v32, vcc_lo, s8, v33
	s_wait_alu 0xfffd
	v_add_co_ci_u32_e32 v33, vcc_lo, s9, v34, vcc_lo
	s_delay_alu instid0(VALU_DEP_3) | instskip(SKIP_4) | instid1(VALU_DEP_4)
	v_lshlrev_b64_e32 v[30:31], 2, v[30:31]
	v_add_co_u32 v34, vcc_lo, s8, v35
	s_wait_alu 0xfffd
	v_add_co_ci_u32_e32 v35, vcc_lo, s9, v36, vcc_lo
	v_add_nc_u32_e32 v2, v50, v2
	v_add_co_u32 v30, vcc_lo, s8, v30
	s_wait_alu 0xfffd
	v_add_co_ci_u32_e32 v31, vcc_lo, s9, v31, vcc_lo
	s_clause 0x9
	global_load_b32 v32, v[32:33], off offset:7640
	global_load_b32 v33, v[34:35], off offset:7640
	;; [unrolled: 1-line block ×10, first 2 shown]
	v_mul_hi_u32 v11, 0x88888889, v0
	v_add_nc_u32_e32 v12, 0x80, v0
	v_mul_lo_u32 v9, s3, v24
	v_mul_lo_u32 v10, s2, v25
	v_mad_co_u64_u32 v[4:5], null, s2, v24, 0
	v_mul_i32_i24_e32 v8, 0xffffffee, v28
	ds_load_u16 v26, v59
	ds_load_u16 v28, v58
	;; [unrolled: 1-line block ×4, first 2 shown]
	ds_load_u16 v58, v49 offset:7424
	ds_load_u16 v59, v49 offset:7168
	;; [unrolled: 1-line block ×8, first 2 shown]
	ds_load_u16 v89, v21
	ds_load_u16 v90, v20
	;; [unrolled: 1-line block ×8, first 2 shown]
	ds_load_u16 v93, v49 offset:5376
	ds_load_u16 v94, v49 offset:5120
	;; [unrolled: 1-line block ×7, first 2 shown]
	ds_load_u16 v49, v49
	v_mul_hi_u32 v18, 0x88888889, v12
	v_lshrrev_b32_e32 v11, 10, v11
	v_add_nc_u32_e32 v13, 0x100, v0
	v_add_nc_u32_e32 v8, v51, v8
	v_add3_u32 v5, v5, v10, v9
	v_mul_hi_u32 v9, 0x88888889, v100
	ds_load_u16 v50, v8
	ds_load_u16 v51, v2
	v_mul_u32_u24_e32 v2, 0x780, v11
	v_lshrrev_b32_e32 v8, 10, v18
	v_mul_hi_u32 v19, 0x88888889, v13
	v_add_nc_u32_e32 v14, 0x180, v0
	v_lshrrev_b32_e32 v102, 10, v9
	v_sub_nc_u32_e32 v2, v0, v2
	v_mul_u32_u24_e32 v9, 0x780, v8
	v_lshlrev_b64_e32 v[4:5], 2, v[4:5]
	v_lshlrev_b64_e32 v[6:7], 2, v[22:23]
	v_mul_hi_u32 v20, 0x88888889, v14
	v_lshrrev_b32_e32 v10, 10, v19
	v_lshlrev_b32_e32 v25, 2, v2
	v_sub_nc_u32_e32 v2, v12, v9
	v_add_co_u32 v4, vcc_lo, s6, v4
	s_delay_alu instid0(VALU_DEP_4)
	v_mul_u32_u24_e32 v11, 0x780, v10
	s_wait_alu 0xfffd
	v_add_co_ci_u32_e32 v5, vcc_lo, s7, v5, vcc_lo
	v_mad_u32_u24 v2, 0xf00, v8, v2
	v_add_nc_u32_e32 v15, 0x200, v0
	v_add_co_u32 v104, vcc_lo, v4, v6
	v_lshrrev_b32_e32 v18, 10, v20
	v_sub_nc_u32_e32 v11, v13, v11
	s_wait_alu 0xfffd
	v_add_co_ci_u32_e32 v105, vcc_lo, v5, v7, vcc_lo
	v_lshlrev_b64_e32 v[4:5], 2, v[2:3]
	v_add_nc_u32_e32 v2, 0x780, v2
	v_add_nc_u32_e32 v16, 0x280, v0
	;; [unrolled: 1-line block ×3, first 2 shown]
	v_mul_hi_u32 v21, 0x88888889, v15
	v_mul_u32_u24_e32 v20, 0x780, v18
	v_lshlrev_b64_e32 v[8:9], 2, v[2:3]
	v_mad_u32_u24 v2, 0xf00, v10, v11
	v_mul_hi_u32 v22, 0x88888889, v16
	v_mul_hi_u32 v23, 0x88888889, v17
	v_sub_nc_u32_e32 v14, v14, v20
	v_add_co_u32 v6, vcc_lo, v104, v25
	v_lshrrev_b32_e32 v19, 10, v21
	v_lshlrev_b64_e32 v[10:11], 2, v[2:3]
	v_add_nc_u32_e32 v2, 0x780, v2
	v_lshrrev_b32_e32 v22, 10, v22
	v_lshrrev_b32_e32 v101, 10, v23
	v_mul_u32_u24_e32 v21, 0x780, v19
	s_wait_alu 0xfffd
	v_add_co_ci_u32_e32 v7, vcc_lo, 0, v105, vcc_lo
	v_lshlrev_b64_e32 v[12:13], 2, v[2:3]
	v_mad_u32_u24 v2, 0xf00, v18, v14
	v_mul_u32_u24_e32 v23, 0x780, v22
	v_mul_u32_u24_e32 v24, 0x780, v101
	v_sub_nc_u32_e32 v20, v15, v21
	v_add_co_u32 v4, vcc_lo, v104, v4
	v_lshlrev_b64_e32 v[14:15], 2, v[2:3]
	v_add_nc_u32_e32 v2, 0x780, v2
	v_sub_nc_u32_e32 v23, v16, v23
	v_sub_nc_u32_e32 v103, v17, v24
	s_wait_alu 0xfffd
	v_add_co_ci_u32_e32 v5, vcc_lo, v105, v5, vcc_lo
	v_lshlrev_b64_e32 v[16:17], 2, v[2:3]
	v_mad_u32_u24 v2, 0xf00, v19, v20
	v_add_co_u32 v8, vcc_lo, v104, v8
	s_wait_alu 0xfffd
	v_add_co_ci_u32_e32 v9, vcc_lo, v105, v9, vcc_lo
	s_delay_alu instid0(VALU_DEP_3) | instskip(SKIP_4) | instid1(VALU_DEP_3)
	v_lshlrev_b64_e32 v[18:19], 2, v[2:3]
	v_add_nc_u32_e32 v2, 0x780, v2
	v_add_co_u32 v10, vcc_lo, v104, v10
	s_wait_alu 0xfffd
	v_add_co_ci_u32_e32 v11, vcc_lo, v105, v11, vcc_lo
	v_lshlrev_b64_e32 v[20:21], 2, v[2:3]
	v_mad_u32_u24 v2, 0xf00, v22, v23
	v_add_co_u32 v12, vcc_lo, v104, v12
	s_wait_alu 0xfffd
	v_add_co_ci_u32_e32 v13, vcc_lo, v105, v13, vcc_lo
	s_delay_alu instid0(VALU_DEP_3) | instskip(SKIP_4) | instid1(VALU_DEP_3)
	v_lshlrev_b64_e32 v[22:23], 2, v[2:3]
	v_add_nc_u32_e32 v2, 0x780, v2
	v_add_co_u32 v14, vcc_lo, v104, v14
	s_wait_alu 0xfffd
	v_add_co_ci_u32_e32 v15, vcc_lo, v105, v15, vcc_lo
	v_lshlrev_b64_e32 v[24:25], 2, v[2:3]
	v_mad_u32_u24 v2, 0xf00, v101, v103
	v_add_co_u32 v16, vcc_lo, v104, v16
	s_wait_alu 0xfffd
	v_add_co_ci_u32_e32 v17, vcc_lo, v105, v17, vcc_lo
	v_add_co_u32 v18, vcc_lo, v104, v18
	s_wait_alu 0xfffd
	v_add_co_ci_u32_e32 v19, vcc_lo, v105, v19, vcc_lo
	;; [unrolled: 3-line block ×4, first 2 shown]
	s_wait_loadcnt 0xe
	v_lshrrev_b32_e32 v101, 16, v1
	s_wait_dscnt 0x19
	v_mul_f16_e32 v103, v1, v58
	s_delay_alu instid0(VALU_DEP_2) | instskip(NEXT) | instid1(VALU_DEP_2)
	v_mul_f16_e32 v58, v101, v58
	v_fmac_f16_e32 v103, v80, v101
	s_delay_alu instid0(VALU_DEP_2) | instskip(NEXT) | instid1(VALU_DEP_2)
	v_fma_f16 v1, v80, v1, -v58
	v_sub_f16_e32 v58, v26, v103
	s_delay_alu instid0(VALU_DEP_1)
	v_fma_f16 v26, v26, 2.0, -v58
	s_wait_loadcnt 0xd
	v_lshrrev_b32_e32 v106, 16, v37
	s_wait_dscnt 0x18
	v_mul_f16_e32 v107, v37, v59
	s_wait_loadcnt 0xb
	v_lshrrev_b32_e32 v110, 16, v39
	v_lshrrev_b32_e32 v108, 16, v38
	s_wait_dscnt 0x16
	v_mul_f16_e32 v111, v39, v84
	v_mul_f16_e32 v59, v106, v59
	v_fmac_f16_e32 v107, v79, v106
	v_mul_f16_e32 v84, v110, v84
	v_mul_f16_e32 v109, v38, v83
	;; [unrolled: 1-line block ×3, first 2 shown]
	v_fma_f16 v37, v79, v37, -v59
	s_wait_loadcnt 0xa
	v_lshrrev_b32_e32 v112, 16, v40
	v_fma_f16 v39, v77, v39, -v84
	s_wait_loadcnt 0x8
	v_lshrrev_b32_e32 v116, 16, v33
	s_wait_loadcnt 0x7
	v_lshrrev_b32_e32 v118, 16, v30
	;; [unrolled: 2-line block ×9, first 2 shown]
	s_wait_dscnt 0x3
	v_mul_f16_e64 v133, v82, v99
	v_mul_f16_e64 v131, v81, v98
	;; [unrolled: 1-line block ×6, first 2 shown]
	v_mul_f16_e32 v127, v36, v96
	v_mul_f16_e32 v96, v126, v96
	v_fmac_f16_e64 v133, v66, v132
	v_fma_f16 v66, v66, v82, -v99
	v_fmac_f16_e64 v131, v67, v130
	v_fma_f16 v67, v67, v81, -v98
	;; [unrolled: 2-line block ×3, first 2 shown]
	v_fmac_f16_e32 v127, v69, v126
	v_fma_f16 v36, v69, v36, -v96
	s_wait_dscnt 0x2
	v_sub_f16_e64 v80, v49, v133
	v_sub_f16_e32 v66, v27, v66
	s_wait_dscnt 0x0
	v_sub_f16_e64 v79, v51, v131
	v_sub_f16_e32 v67, v48, v67
	v_mul_f16_e32 v125, v35, v95
	v_mul_f16_e32 v95, v124, v95
	v_sub_f16_e64 v68, v50, v129
	v_sub_f16_e32 v41, v60, v41
	v_mul_f16_e32 v123, v34, v94
	v_mul_f16_e32 v94, v122, v94
	v_sub_f16_e32 v69, v54, v127
	v_sub_f16_e32 v36, v44, v36
	v_fma_f16 v49, v49, 2.0, -v80
	v_fma_f16 v27, v27, 2.0, -v66
	;; [unrolled: 1-line block ×4, first 2 shown]
	v_fmac_f16_e32 v125, v70, v124
	v_fma_f16 v35, v70, v35, -v95
	v_fma_f16 v50, v50, 2.0, -v68
	v_fma_f16 v60, v60, 2.0, -v41
	v_fmac_f16_e32 v123, v71, v122
	v_fma_f16 v34, v71, v34, -v94
	v_fma_f16 v54, v54, 2.0, -v69
	v_fma_f16 v44, v44, 2.0, -v36
	v_pack_b32_f16 v27, v27, v49
	v_pack_b32_f16 v66, v66, v80
	;; [unrolled: 1-line block ×3, first 2 shown]
	v_sub_f16_e32 v70, v55, v125
	v_sub_f16_e32 v35, v45, v35
	v_pack_b32_f16 v67, v67, v79
	v_pack_b32_f16 v49, v60, v50
	v_sub_f16_e32 v71, v52, v123
	v_sub_f16_e32 v34, v29, v34
	v_pack_b32_f16 v41, v41, v68
	v_pack_b32_f16 v36, v36, v69
	;; [unrolled: 1-line block ×3, first 2 shown]
	s_clause 0x7
	global_store_b32 v[6:7], v27, off
	global_store_b32 v[6:7], v66, off offset:7680
	global_store_b32 v[4:5], v48, off
	global_store_b32 v[8:9], v67, off
	;; [unrolled: 1-line block ×6, first 2 shown]
	v_add_nc_u32_e32 v12, 0x400, v0
	v_fma_f16 v55, v55, 2.0, -v70
	v_fma_f16 v45, v45, 2.0, -v35
	v_mul_u32_u24_e32 v8, 0x780, v102
	v_fma_f16 v52, v52, 2.0, -v71
	v_fma_f16 v29, v29, 2.0, -v34
	v_mul_hi_u32 v10, 0x88888889, v12
	v_pack_b32_f16 v45, v45, v55
	v_lshlrev_b64_e32 v[6:7], 2, v[2:3]
	v_add_nc_u32_e32 v2, 0x780, v2
	v_sub_nc_u32_e32 v8, v100, v8
	v_pack_b32_f16 v35, v35, v70
	v_add_co_u32 v4, vcc_lo, v104, v24
	v_pack_b32_f16 v29, v29, v52
	v_add_nc_u32_e32 v16, 0x480, v0
	s_wait_alu 0xfffd
	v_add_co_ci_u32_e32 v5, vcc_lo, v105, v25, vcc_lo
	v_pack_b32_f16 v9, v34, v71
	v_mul_f16_e32 v121, v31, v93
	v_mul_f16_e32 v93, v120, v93
	s_clause 0x3
	global_store_b32 v[18:19], v45, off
	global_store_b32 v[20:21], v35, off
	;; [unrolled: 1-line block ×4, first 2 shown]
	v_lshlrev_b64_e32 v[4:5], 2, v[2:3]
	v_mad_u32_u24 v2, 0xf00, v102, v8
	v_lshrrev_b32_e32 v13, 10, v10
	v_mul_f16_e32 v119, v30, v88
	v_mul_f16_e32 v88, v118, v88
	v_mul_hi_u32 v18, 0x88888889, v16
	v_fmac_f16_e32 v121, v72, v120
	v_fma_f16 v31, v72, v31, -v93
	v_lshlrev_b64_e32 v[8:9], 2, v[2:3]
	v_add_nc_u32_e32 v2, 0x780, v2
	v_mul_u32_u24_e32 v15, 0x780, v13
	v_fmac_f16_e32 v119, v73, v118
	v_fma_f16 v30, v73, v30, -v88
	v_sub_f16_e32 v72, v92, v121
	v_sub_f16_e32 v31, v42, v31
	v_lshlrev_b64_e32 v[10:11], 2, v[2:3]
	v_sub_nc_u32_e32 v2, v12, v15
	v_lshrrev_b32_e32 v18, 10, v18
	v_sub_f16_e32 v73, v91, v119
	v_sub_f16_e32 v30, v43, v30
	v_add_co_u32 v6, vcc_lo, v104, v6
	v_add_nc_u32_e32 v19, 0x500, v0
	s_wait_alu 0xfffd
	v_add_co_ci_u32_e32 v7, vcc_lo, v105, v7, vcc_lo
	v_fma_f16 v84, v92, 2.0, -v72
	v_fma_f16 v42, v42, 2.0, -v31
	v_add_co_u32 v4, vcc_lo, v104, v4
	v_mad_u32_u24 v2, 0xf00, v13, v2
	v_mul_u32_u24_e32 v20, 0x780, v18
	v_fma_f16 v38, v78, v38, -v83
	v_fma_f16 v83, v91, 2.0, -v73
	v_fma_f16 v43, v43, 2.0, -v30
	s_wait_alu 0xfffd
	v_add_co_ci_u32_e32 v5, vcc_lo, v105, v5, vcc_lo
	v_mul_hi_u32 v22, 0x88888889, v19
	v_lshrrev_b32_e32 v114, 16, v32
	v_add_co_u32 v8, vcc_lo, v104, v8
	v_pack_b32_f16 v14, v42, v84
	s_wait_alu 0xfffd
	v_add_co_ci_u32_e32 v9, vcc_lo, v105, v9, vcc_lo
	v_lshlrev_b64_e32 v[12:13], 2, v[2:3]
	v_add_nc_u32_e32 v2, 0x780, v2
	v_sub_nc_u32_e32 v16, v16, v20
	v_mul_f16_e32 v117, v33, v87
	v_mul_f16_e32 v87, v116, v87
	v_pack_b32_f16 v17, v31, v72
	v_add_co_u32 v10, vcc_lo, v104, v10
	v_pack_b32_f16 v15, v43, v83
	v_mul_f16_e32 v113, v40, v85
	v_mul_f16_e32 v115, v32, v86
	;; [unrolled: 1-line block ×3, first 2 shown]
	s_wait_alu 0xfffd
	v_add_co_ci_u32_e32 v11, vcc_lo, v105, v11, vcc_lo
	v_pack_b32_f16 v21, v30, v73
	s_clause 0x3
	global_store_b32 v[6:7], v14, off
	global_store_b32 v[4:5], v17, off
	;; [unrolled: 1-line block ×4, first 2 shown]
	v_lshlrev_b64_e32 v[4:5], 2, v[2:3]
	v_mad_u32_u24 v2, 0xf00, v18, v16
	v_lshrrev_b32_e32 v14, 10, v22
	v_fmac_f16_e32 v117, v74, v116
	v_fma_f16 v33, v74, v33, -v87
	v_mul_f16_e32 v85, v112, v85
	v_fmac_f16_e32 v113, v76, v112
	v_fmac_f16_e32 v115, v75, v114
	v_fma_f16 v32, v75, v32, -v86
	v_add_nc_u32_e32 v16, 0x580, v0
	v_add_co_u32 v6, vcc_lo, v104, v12
	v_lshlrev_b64_e32 v[8:9], 2, v[2:3]
	v_add_nc_u32_e32 v2, 0x780, v2
	v_mul_u32_u24_e32 v12, 0x780, v14
	v_sub_f16_e32 v74, v90, v117
	v_sub_f16_e32 v33, v46, v33
	v_fma_f16 v40, v76, v40, -v85
	v_sub_f16_e32 v76, v53, v113
	v_sub_f16_e32 v75, v89, v115
	;; [unrolled: 1-line block ×3, first 2 shown]
	s_wait_alu 0xfffd
	v_add_co_ci_u32_e32 v7, vcc_lo, v105, v13, vcc_lo
	v_mul_hi_u32 v13, 0x88888889, v16
	v_lshlrev_b64_e32 v[10:11], 2, v[2:3]
	v_sub_nc_u32_e32 v2, v19, v12
	v_fma_f16 v82, v90, 2.0, -v74
	v_fma_f16 v46, v46, 2.0, -v33
	v_add_co_u32 v4, vcc_lo, v104, v4
	v_sub_f16_e32 v81, v65, v1
	v_sub_f16_e32 v1, v61, v40
	v_fma_f16 v40, v53, 2.0, -v76
	v_fma_f16 v53, v89, 2.0, -v75
	;; [unrolled: 1-line block ×3, first 2 shown]
	s_wait_alu 0xfffd
	v_add_co_ci_u32_e32 v5, vcc_lo, v105, v5, vcc_lo
	v_add_co_u32 v8, vcc_lo, v104, v8
	v_mad_u32_u24 v2, 0xf00, v14, v2
	v_pack_b32_f16 v15, v46, v82
	s_wait_alu 0xfffd
	v_add_co_ci_u32_e32 v9, vcc_lo, v105, v9, vcc_lo
	v_lshrrev_b32_e32 v14, 10, v13
	v_pack_b32_f16 v17, v33, v74
	v_add_co_u32 v10, vcc_lo, v104, v10
	v_pack_b32_f16 v18, v47, v53
	s_wait_alu 0xfffd
	v_add_co_ci_u32_e32 v11, vcc_lo, v105, v11, vcc_lo
	v_pack_b32_f16 v19, v32, v75
	v_lshlrev_b64_e32 v[12:13], 2, v[2:3]
	v_add_nc_u32_e32 v2, 0x780, v2
	v_mul_u32_u24_e32 v20, 0x780, v14
	s_clause 0x3
	global_store_b32 v[6:7], v15, off
	global_store_b32 v[4:5], v17, off
	;; [unrolled: 1-line block ×4, first 2 shown]
	v_add_nc_u32_e32 v10, 0x600, v0
	v_fma_f16 v61, v61, 2.0, -v1
	v_lshlrev_b64_e32 v[4:5], 2, v[2:3]
	v_sub_nc_u32_e32 v2, v16, v20
	v_add_co_u32 v6, vcc_lo, v104, v12
	v_mul_hi_u32 v12, 0x88888889, v10
	s_wait_alu 0xfffd
	v_add_co_ci_u32_e32 v7, vcc_lo, v105, v13, vcc_lo
	v_mad_u32_u24 v2, 0xf00, v14, v2
	v_add_co_u32 v4, vcc_lo, v104, v4
	v_pack_b32_f16 v11, v61, v40
	v_add_nc_u32_e32 v13, 0x680, v0
	v_lshrrev_b32_e32 v12, 10, v12
	s_wait_alu 0xfffd
	v_add_co_ci_u32_e32 v5, vcc_lo, v105, v5, vcc_lo
	v_pack_b32_f16 v1, v1, v76
	v_lshlrev_b64_e32 v[8:9], 2, v[2:3]
	s_clause 0x1
	global_store_b32 v[6:7], v11, off
	global_store_b32 v[4:5], v1, off
	v_mul_hi_u32 v1, 0x88888889, v13
	v_mul_u32_u24_e32 v6, 0x780, v12
	v_fmac_f16_e32 v111, v77, v110
	v_add_co_u32 v4, vcc_lo, v104, v8
	v_add_nc_u32_e32 v2, 0x780, v2
	s_wait_alu 0xfffd
	v_add_co_ci_u32_e32 v5, vcc_lo, v105, v9, vcc_lo
	v_sub_nc_u32_e32 v6, v10, v6
	v_add_nc_u32_e32 v9, 0x700, v0
	v_sub_f16_e32 v77, v56, v111
	v_sub_f16_e32 v39, v62, v39
	v_lshrrev_b32_e32 v8, 10, v1
	v_lshlrev_b64_e32 v[0:1], 2, v[2:3]
	v_mad_u32_u24 v2, 0xf00, v12, v6
	v_mul_hi_u32 v12, 0x88888889, v9
	v_fma_f16 v56, v56, 2.0, -v77
	v_fma_f16 v62, v62, 2.0, -v39
	v_mul_u32_u24_e32 v11, 0x780, v8
	v_add_co_u32 v0, vcc_lo, v104, v0
	v_lshlrev_b64_e32 v[6:7], 2, v[2:3]
	s_delay_alu instid0(VALU_DEP_4)
	v_pack_b32_f16 v10, v62, v56
	v_add_nc_u32_e32 v2, 0x780, v2
	v_sub_nc_u32_e32 v11, v13, v11
	v_lshrrev_b32_e32 v12, 10, v12
	s_wait_alu 0xfffd
	v_add_co_ci_u32_e32 v1, vcc_lo, v105, v1, vcc_lo
	v_pack_b32_f16 v14, v39, v77
	s_clause 0x1
	global_store_b32 v[4:5], v10, off
	global_store_b32 v[0:1], v14, off
	v_lshlrev_b64_e32 v[0:1], 2, v[2:3]
	v_mad_u32_u24 v2, 0xf00, v8, v11
	v_mul_u32_u24_e32 v8, 0x780, v12
	v_add_co_u32 v4, vcc_lo, v104, v6
	s_wait_alu 0xfffd
	v_add_co_ci_u32_e32 v5, vcc_lo, v105, v7, vcc_lo
	v_lshlrev_b64_e32 v[6:7], 2, v[2:3]
	v_add_nc_u32_e32 v2, 0x780, v2
	v_sub_nc_u32_e32 v10, v9, v8
	v_fmac_f16_e32 v109, v78, v108
	v_sub_f16_e32 v38, v63, v38
	v_add_co_u32 v0, vcc_lo, v104, v0
	v_lshlrev_b64_e32 v[8:9], 2, v[2:3]
	v_mad_u32_u24 v2, 0xf00, v12, v10
	v_sub_f16_e32 v78, v57, v109
	v_sub_f16_e32 v59, v28, v107
	;; [unrolled: 1-line block ×3, first 2 shown]
	s_wait_alu 0xfffd
	v_add_co_ci_u32_e32 v1, vcc_lo, v105, v1, vcc_lo
	v_lshlrev_b64_e32 v[10:11], 2, v[2:3]
	v_add_nc_u32_e32 v2, 0x780, v2
	v_add_co_u32 v6, vcc_lo, v104, v6
	v_fma_f16 v57, v57, 2.0, -v78
	v_fma_f16 v63, v63, 2.0, -v38
	s_wait_alu 0xfffd
	v_add_co_ci_u32_e32 v7, vcc_lo, v105, v7, vcc_lo
	v_fma_f16 v28, v28, 2.0, -v59
	v_fma_f16 v64, v64, 2.0, -v37
	v_add_co_u32 v8, vcc_lo, v104, v8
	v_lshlrev_b64_e32 v[2:3], 2, v[2:3]
	v_fma_f16 v65, v65, 2.0, -v81
	s_wait_alu 0xfffd
	v_add_co_ci_u32_e32 v9, vcc_lo, v105, v9, vcc_lo
	v_pack_b32_f16 v13, v63, v57
	v_add_co_u32 v10, vcc_lo, v104, v10
	v_pack_b32_f16 v14, v38, v78
	v_pack_b32_f16 v12, v64, v28
	s_wait_alu 0xfffd
	v_add_co_ci_u32_e32 v11, vcc_lo, v105, v11, vcc_lo
	v_pack_b32_f16 v15, v37, v59
	v_add_co_u32 v2, vcc_lo, v104, v2
	v_pack_b32_f16 v16, v65, v26
	s_wait_alu 0xfffd
	v_add_co_ci_u32_e32 v3, vcc_lo, v105, v3, vcc_lo
	v_pack_b32_f16 v17, v81, v58
	s_clause 0x5
	global_store_b32 v[4:5], v13, off
	global_store_b32 v[0:1], v14, off
	;; [unrolled: 1-line block ×6, first 2 shown]
.LBB0_15:
	s_nop 0
	s_sendmsg sendmsg(MSG_DEALLOC_VGPRS)
	s_endpgm
	.section	.rodata,"a",@progbits
	.p2align	6, 0x0
	.amdhsa_kernel fft_rtc_fwd_len3840_factors_10_6_2_2_2_2_2_2_wgs_128_tpt_128_halfLds_half_op_CI_CI_unitstride_sbrr_dirReg
		.amdhsa_group_segment_fixed_size 0
		.amdhsa_private_segment_fixed_size 0
		.amdhsa_kernarg_size 104
		.amdhsa_user_sgpr_count 2
		.amdhsa_user_sgpr_dispatch_ptr 0
		.amdhsa_user_sgpr_queue_ptr 0
		.amdhsa_user_sgpr_kernarg_segment_ptr 1
		.amdhsa_user_sgpr_dispatch_id 0
		.amdhsa_user_sgpr_private_segment_size 0
		.amdhsa_wavefront_size32 1
		.amdhsa_uses_dynamic_stack 0
		.amdhsa_enable_private_segment 0
		.amdhsa_system_sgpr_workgroup_id_x 1
		.amdhsa_system_sgpr_workgroup_id_y 0
		.amdhsa_system_sgpr_workgroup_id_z 0
		.amdhsa_system_sgpr_workgroup_info 0
		.amdhsa_system_vgpr_workitem_id 0
		.amdhsa_next_free_vgpr 151
		.amdhsa_next_free_sgpr 39
		.amdhsa_reserve_vcc 1
		.amdhsa_float_round_mode_32 0
		.amdhsa_float_round_mode_16_64 0
		.amdhsa_float_denorm_mode_32 3
		.amdhsa_float_denorm_mode_16_64 3
		.amdhsa_fp16_overflow 0
		.amdhsa_workgroup_processor_mode 1
		.amdhsa_memory_ordered 1
		.amdhsa_forward_progress 0
		.amdhsa_round_robin_scheduling 0
		.amdhsa_exception_fp_ieee_invalid_op 0
		.amdhsa_exception_fp_denorm_src 0
		.amdhsa_exception_fp_ieee_div_zero 0
		.amdhsa_exception_fp_ieee_overflow 0
		.amdhsa_exception_fp_ieee_underflow 0
		.amdhsa_exception_fp_ieee_inexact 0
		.amdhsa_exception_int_div_zero 0
	.end_amdhsa_kernel
	.text
.Lfunc_end0:
	.size	fft_rtc_fwd_len3840_factors_10_6_2_2_2_2_2_2_wgs_128_tpt_128_halfLds_half_op_CI_CI_unitstride_sbrr_dirReg, .Lfunc_end0-fft_rtc_fwd_len3840_factors_10_6_2_2_2_2_2_2_wgs_128_tpt_128_halfLds_half_op_CI_CI_unitstride_sbrr_dirReg
                                        ; -- End function
	.section	.AMDGPU.csdata,"",@progbits
; Kernel info:
; codeLenInByte = 27708
; NumSgprs: 41
; NumVgprs: 151
; ScratchSize: 0
; MemoryBound: 0
; FloatMode: 240
; IeeeMode: 1
; LDSByteSize: 0 bytes/workgroup (compile time only)
; SGPRBlocks: 5
; VGPRBlocks: 18
; NumSGPRsForWavesPerEU: 41
; NumVGPRsForWavesPerEU: 151
; Occupancy: 9
; WaveLimiterHint : 1
; COMPUTE_PGM_RSRC2:SCRATCH_EN: 0
; COMPUTE_PGM_RSRC2:USER_SGPR: 2
; COMPUTE_PGM_RSRC2:TRAP_HANDLER: 0
; COMPUTE_PGM_RSRC2:TGID_X_EN: 1
; COMPUTE_PGM_RSRC2:TGID_Y_EN: 0
; COMPUTE_PGM_RSRC2:TGID_Z_EN: 0
; COMPUTE_PGM_RSRC2:TIDIG_COMP_CNT: 0
	.text
	.p2alignl 7, 3214868480
	.fill 96, 4, 3214868480
	.type	__hip_cuid_7e6b720a16247214,@object ; @__hip_cuid_7e6b720a16247214
	.section	.bss,"aw",@nobits
	.globl	__hip_cuid_7e6b720a16247214
__hip_cuid_7e6b720a16247214:
	.byte	0                               ; 0x0
	.size	__hip_cuid_7e6b720a16247214, 1

	.ident	"AMD clang version 19.0.0git (https://github.com/RadeonOpenCompute/llvm-project roc-6.4.0 25133 c7fe45cf4b819c5991fe208aaa96edf142730f1d)"
	.section	".note.GNU-stack","",@progbits
	.addrsig
	.addrsig_sym __hip_cuid_7e6b720a16247214
	.amdgpu_metadata
---
amdhsa.kernels:
  - .args:
      - .actual_access:  read_only
        .address_space:  global
        .offset:         0
        .size:           8
        .value_kind:     global_buffer
      - .offset:         8
        .size:           8
        .value_kind:     by_value
      - .actual_access:  read_only
        .address_space:  global
        .offset:         16
        .size:           8
        .value_kind:     global_buffer
      - .actual_access:  read_only
        .address_space:  global
        .offset:         24
        .size:           8
        .value_kind:     global_buffer
      - .actual_access:  read_only
        .address_space:  global
        .offset:         32
        .size:           8
        .value_kind:     global_buffer
      - .offset:         40
        .size:           8
        .value_kind:     by_value
      - .actual_access:  read_only
        .address_space:  global
        .offset:         48
        .size:           8
        .value_kind:     global_buffer
      - .actual_access:  read_only
        .address_space:  global
        .offset:         56
        .size:           8
        .value_kind:     global_buffer
      - .offset:         64
        .size:           4
        .value_kind:     by_value
      - .actual_access:  read_only
        .address_space:  global
        .offset:         72
        .size:           8
        .value_kind:     global_buffer
      - .actual_access:  read_only
        .address_space:  global
        .offset:         80
        .size:           8
        .value_kind:     global_buffer
      - .actual_access:  read_only
        .address_space:  global
        .offset:         88
        .size:           8
        .value_kind:     global_buffer
      - .actual_access:  write_only
        .address_space:  global
        .offset:         96
        .size:           8
        .value_kind:     global_buffer
    .group_segment_fixed_size: 0
    .kernarg_segment_align: 8
    .kernarg_segment_size: 104
    .language:       OpenCL C
    .language_version:
      - 2
      - 0
    .max_flat_workgroup_size: 128
    .name:           fft_rtc_fwd_len3840_factors_10_6_2_2_2_2_2_2_wgs_128_tpt_128_halfLds_half_op_CI_CI_unitstride_sbrr_dirReg
    .private_segment_fixed_size: 0
    .sgpr_count:     41
    .sgpr_spill_count: 0
    .symbol:         fft_rtc_fwd_len3840_factors_10_6_2_2_2_2_2_2_wgs_128_tpt_128_halfLds_half_op_CI_CI_unitstride_sbrr_dirReg.kd
    .uniform_work_group_size: 1
    .uses_dynamic_stack: false
    .vgpr_count:     151
    .vgpr_spill_count: 0
    .wavefront_size: 32
    .workgroup_processor_mode: 1
amdhsa.target:   amdgcn-amd-amdhsa--gfx1201
amdhsa.version:
  - 1
  - 2
...

	.end_amdgpu_metadata
